;; amdgpu-corpus repo=ROCm/rocFFT kind=compiled arch=gfx950 opt=O3
	.text
	.amdgcn_target "amdgcn-amd-amdhsa--gfx950"
	.amdhsa_code_object_version 6
	.protected	fft_rtc_back_len1078_factors_2_11_7_7_wgs_231_tpt_77_halfLds_dp_op_CI_CI_unitstride_sbrr_dirReg ; -- Begin function fft_rtc_back_len1078_factors_2_11_7_7_wgs_231_tpt_77_halfLds_dp_op_CI_CI_unitstride_sbrr_dirReg
	.globl	fft_rtc_back_len1078_factors_2_11_7_7_wgs_231_tpt_77_halfLds_dp_op_CI_CI_unitstride_sbrr_dirReg
	.p2align	8
	.type	fft_rtc_back_len1078_factors_2_11_7_7_wgs_231_tpt_77_halfLds_dp_op_CI_CI_unitstride_sbrr_dirReg,@function
fft_rtc_back_len1078_factors_2_11_7_7_wgs_231_tpt_77_halfLds_dp_op_CI_CI_unitstride_sbrr_dirReg: ; @fft_rtc_back_len1078_factors_2_11_7_7_wgs_231_tpt_77_halfLds_dp_op_CI_CI_unitstride_sbrr_dirReg
; %bb.0:
	s_load_dwordx4 s[4:7], s[0:1], 0x58
	s_load_dwordx4 s[8:11], s[0:1], 0x0
	;; [unrolled: 1-line block ×3, first 2 shown]
	v_mul_u32_u24_e32 v1, 0x354, v0
	v_lshrrev_b32_e32 v2, 16, v1
	v_mad_u64_u32 v[2:3], s[2:3], s2, 3, v[2:3]
	v_mov_b32_e32 v6, 0
	v_mov_b32_e32 v3, v6
	s_waitcnt lgkmcnt(0)
	v_cmp_lt_u64_e64 s[2:3], s[10:11], 2
	v_mov_b64_e32 v[4:5], 0
	s_and_b64 vcc, exec, s[2:3]
	v_mov_b64_e32 v[96:97], v[4:5]
	v_mov_b64_e32 v[98:99], v[2:3]
	s_cbranch_vccnz .LBB0_8
; %bb.1:
	s_load_dwordx2 s[2:3], s[0:1], 0x10
	s_add_u32 s16, s14, 8
	s_addc_u32 s17, s15, 0
	s_add_u32 s18, s12, 8
	s_addc_u32 s19, s13, 0
	s_waitcnt lgkmcnt(0)
	s_add_u32 s20, s2, 8
	v_mov_b64_e32 v[4:5], 0
	s_addc_u32 s21, s3, 0
	s_mov_b64 s[22:23], 1
	v_mov_b64_e32 v[96:97], v[4:5]
	v_mov_b64_e32 v[8:9], v[2:3]
.LBB0_2:                                ; =>This Inner Loop Header: Depth=1
	s_load_dwordx2 s[24:25], s[20:21], 0x0
                                        ; implicit-def: $vgpr98_vgpr99
	s_waitcnt lgkmcnt(0)
	v_or_b32_e32 v7, s25, v9
	v_cmp_ne_u64_e32 vcc, 0, v[6:7]
	s_and_saveexec_b64 s[2:3], vcc
	s_xor_b64 s[26:27], exec, s[2:3]
	s_cbranch_execz .LBB0_4
; %bb.3:                                ;   in Loop: Header=BB0_2 Depth=1
	v_cvt_f32_u32_e32 v1, s24
	v_cvt_f32_u32_e32 v3, s25
	s_sub_u32 s2, 0, s24
	s_subb_u32 s3, 0, s25
	v_fmac_f32_e32 v1, 0x4f800000, v3
	v_rcp_f32_e32 v1, v1
	s_nop 0
	v_mul_f32_e32 v1, 0x5f7ffffc, v1
	v_mul_f32_e32 v3, 0x2f800000, v1
	v_trunc_f32_e32 v3, v3
	v_fmac_f32_e32 v1, 0xcf800000, v3
	v_cvt_u32_f32_e32 v3, v3
	v_cvt_u32_f32_e32 v1, v1
	v_mul_lo_u32 v7, s2, v3
	v_mul_hi_u32 v10, s2, v1
	v_mul_lo_u32 v11, s3, v1
	v_add_u32_e32 v7, v10, v7
	v_mul_lo_u32 v14, s2, v1
	v_add_u32_e32 v7, v7, v11
	v_mul_hi_u32 v10, v1, v14
	v_mul_hi_u32 v13, v1, v7
	v_mul_lo_u32 v12, v1, v7
	v_mov_b32_e32 v11, v6
	v_lshl_add_u64 v[10:11], v[10:11], 0, v[12:13]
	v_mul_hi_u32 v13, v3, v14
	v_mul_lo_u32 v14, v3, v14
	v_add_co_u32_e32 v10, vcc, v10, v14
	v_mul_hi_u32 v12, v3, v7
	s_nop 0
	v_addc_co_u32_e32 v10, vcc, v11, v13, vcc
	v_mov_b32_e32 v11, v6
	s_nop 0
	v_addc_co_u32_e32 v13, vcc, 0, v12, vcc
	v_mul_lo_u32 v12, v3, v7
	v_lshl_add_u64 v[10:11], v[10:11], 0, v[12:13]
	v_add_co_u32_e32 v1, vcc, v1, v10
	v_mul_hi_u32 v10, s2, v1
	s_nop 0
	v_addc_co_u32_e32 v3, vcc, v3, v11, vcc
	v_mul_lo_u32 v7, s2, v3
	v_add_u32_e32 v7, v10, v7
	v_mul_lo_u32 v10, s3, v1
	v_add_u32_e32 v7, v7, v10
	v_mul_lo_u32 v12, s2, v1
	v_mul_hi_u32 v15, v3, v12
	v_mul_lo_u32 v16, v3, v12
	v_mul_hi_u32 v11, v1, v7
	;; [unrolled: 2-line block ×3, first 2 shown]
	v_mov_b32_e32 v13, v6
	v_lshl_add_u64 v[10:11], v[12:13], 0, v[10:11]
	v_add_co_u32_e32 v10, vcc, v10, v16
	v_mul_hi_u32 v14, v3, v7
	s_nop 0
	v_addc_co_u32_e32 v10, vcc, v11, v15, vcc
	v_mul_lo_u32 v12, v3, v7
	s_nop 0
	v_addc_co_u32_e32 v13, vcc, 0, v14, vcc
	v_mov_b32_e32 v11, v6
	v_lshl_add_u64 v[10:11], v[10:11], 0, v[12:13]
	v_add_co_u32_e32 v1, vcc, v1, v10
	v_mul_hi_u32 v12, v8, v1
	s_nop 0
	v_addc_co_u32_e32 v3, vcc, v3, v11, vcc
	v_mad_u64_u32 v[10:11], s[2:3], v8, v3, 0
	v_mov_b32_e32 v13, v6
	v_lshl_add_u64 v[10:11], v[12:13], 0, v[10:11]
	v_mad_u64_u32 v[14:15], s[2:3], v9, v1, 0
	v_add_co_u32_e32 v1, vcc, v10, v14
	v_mad_u64_u32 v[12:13], s[2:3], v9, v3, 0
	s_nop 0
	v_addc_co_u32_e32 v10, vcc, v11, v15, vcc
	v_mov_b32_e32 v11, v6
	s_nop 0
	v_addc_co_u32_e32 v13, vcc, 0, v13, vcc
	v_lshl_add_u64 v[10:11], v[10:11], 0, v[12:13]
	v_mul_lo_u32 v1, s25, v10
	v_mul_lo_u32 v3, s24, v11
	v_mad_u64_u32 v[12:13], s[2:3], s24, v10, 0
	v_add3_u32 v1, v13, v3, v1
	v_sub_u32_e32 v3, v9, v1
	v_mov_b32_e32 v7, s25
	v_sub_co_u32_e32 v16, vcc, v8, v12
	v_lshl_add_u64 v[14:15], v[10:11], 0, 1
	s_nop 0
	v_subb_co_u32_e64 v3, s[2:3], v3, v7, vcc
	v_subrev_co_u32_e64 v7, s[2:3], s24, v16
	v_subb_co_u32_e32 v1, vcc, v9, v1, vcc
	s_nop 0
	v_subbrev_co_u32_e64 v3, s[2:3], 0, v3, s[2:3]
	v_cmp_le_u32_e64 s[2:3], s25, v3
	v_cmp_le_u32_e32 vcc, s25, v1
	s_nop 0
	v_cndmask_b32_e64 v12, 0, -1, s[2:3]
	v_cmp_le_u32_e64 s[2:3], s24, v7
	s_nop 1
	v_cndmask_b32_e64 v7, 0, -1, s[2:3]
	v_cmp_eq_u32_e64 s[2:3], s25, v3
	s_nop 1
	v_cndmask_b32_e64 v3, v12, v7, s[2:3]
	v_lshl_add_u64 v[12:13], v[10:11], 0, 2
	v_cmp_ne_u32_e64 s[2:3], 0, v3
	v_cndmask_b32_e64 v7, 0, -1, vcc
	v_cmp_le_u32_e32 vcc, s24, v16
	v_cndmask_b32_e64 v3, v15, v13, s[2:3]
	s_nop 0
	v_cndmask_b32_e64 v13, 0, -1, vcc
	v_cmp_eq_u32_e32 vcc, s25, v1
	s_nop 1
	v_cndmask_b32_e32 v1, v7, v13, vcc
	v_cmp_ne_u32_e32 vcc, 0, v1
	v_cndmask_b32_e64 v1, v14, v12, s[2:3]
	s_nop 0
	v_cndmask_b32_e32 v99, v11, v3, vcc
	v_cndmask_b32_e32 v98, v10, v1, vcc
.LBB0_4:                                ;   in Loop: Header=BB0_2 Depth=1
	s_andn2_saveexec_b64 s[2:3], s[26:27]
	s_cbranch_execz .LBB0_6
; %bb.5:                                ;   in Loop: Header=BB0_2 Depth=1
	v_cvt_f32_u32_e32 v1, s24
	s_sub_i32 s26, 0, s24
	v_mov_b32_e32 v99, v6
	v_rcp_iflag_f32_e32 v1, v1
	s_nop 0
	v_mul_f32_e32 v1, 0x4f7ffffe, v1
	v_cvt_u32_f32_e32 v1, v1
	v_mul_lo_u32 v3, s26, v1
	v_mul_hi_u32 v3, v1, v3
	v_add_u32_e32 v1, v1, v3
	v_mul_hi_u32 v1, v8, v1
	v_mul_lo_u32 v3, v1, s24
	v_sub_u32_e32 v3, v8, v3
	v_add_u32_e32 v7, 1, v1
	v_subrev_u32_e32 v10, s24, v3
	v_cmp_le_u32_e32 vcc, s24, v3
	s_nop 1
	v_cndmask_b32_e32 v3, v3, v10, vcc
	v_cndmask_b32_e32 v1, v1, v7, vcc
	v_add_u32_e32 v7, 1, v1
	v_cmp_le_u32_e32 vcc, s24, v3
	s_nop 1
	v_cndmask_b32_e32 v98, v1, v7, vcc
.LBB0_6:                                ;   in Loop: Header=BB0_2 Depth=1
	s_or_b64 exec, exec, s[2:3]
	v_mad_u64_u32 v[10:11], s[2:3], v98, s24, 0
	s_load_dwordx2 s[2:3], s[18:19], 0x0
	s_add_u32 s22, s22, 1
	v_mul_lo_u32 v1, v99, s24
	v_mul_lo_u32 v3, v98, s25
	s_load_dwordx2 s[24:25], s[16:17], 0x0
	s_addc_u32 s23, s23, 0
	v_add3_u32 v1, v11, v3, v1
	v_sub_co_u32_e32 v3, vcc, v8, v10
	s_add_u32 s16, s16, 8
	s_nop 0
	v_subb_co_u32_e32 v1, vcc, v9, v1, vcc
	s_addc_u32 s17, s17, 0
	s_waitcnt lgkmcnt(0)
	v_mul_lo_u32 v7, s2, v1
	v_mul_lo_u32 v8, s3, v3
	v_mad_u64_u32 v[4:5], s[2:3], s2, v3, v[4:5]
	s_add_u32 s18, s18, 8
	v_add3_u32 v5, v8, v5, v7
	s_addc_u32 s19, s19, 0
	v_mov_b64_e32 v[8:9], s[10:11]
	v_mul_lo_u32 v1, s24, v1
	v_mul_lo_u32 v7, s25, v3
	v_mad_u64_u32 v[96:97], s[2:3], s24, v3, v[96:97]
	s_add_u32 s20, s20, 8
	v_cmp_ge_u64_e32 vcc, s[22:23], v[8:9]
	v_add3_u32 v97, v7, v97, v1
	s_addc_u32 s21, s21, 0
	s_cbranch_vccnz .LBB0_8
; %bb.7:                                ;   in Loop: Header=BB0_2 Depth=1
	v_mov_b64_e32 v[8:9], v[98:99]
	s_branch .LBB0_2
.LBB0_8:
	s_load_dwordx2 s[0:1], s[0:1], 0x28
	s_lshl_b64 s[16:17], s[10:11], 3
	s_add_u32 s2, s14, s16
	s_addc_u32 s3, s15, s17
                                        ; implicit-def: $vgpr116
	s_waitcnt lgkmcnt(0)
	v_cmp_gt_u64_e32 vcc, s[0:1], v[98:99]
	v_cmp_le_u64_e64 s[0:1], s[0:1], v[98:99]
	s_and_saveexec_b64 s[10:11], s[0:1]
	s_xor_b64 s[0:1], exec, s[10:11]
; %bb.9:
	s_mov_b32 s10, 0x3531ded
	v_mul_hi_u32 v1, v0, s10
	v_mul_u32_u24_e32 v1, 0x4d, v1
	v_sub_u32_e32 v116, v0, v1
                                        ; implicit-def: $vgpr0
                                        ; implicit-def: $vgpr4_vgpr5
; %bb.10:
	s_or_saveexec_b64 s[10:11], s[0:1]
                                        ; implicit-def: $vgpr86_vgpr87
                                        ; implicit-def: $vgpr80_vgpr81
                                        ; implicit-def: $vgpr76_vgpr77
                                        ; implicit-def: $vgpr72_vgpr73
                                        ; implicit-def: $vgpr68_vgpr69
                                        ; implicit-def: $vgpr90_vgpr91
                                        ; implicit-def: $vgpr60_vgpr61
                                        ; implicit-def: $vgpr56_vgpr57
                                        ; implicit-def: $vgpr64_vgpr65
                                        ; implicit-def: $vgpr52_vgpr53
                                        ; implicit-def: $vgpr40_vgpr41
                                        ; implicit-def: $vgpr28_vgpr29
                                        ; implicit-def: $vgpr32_vgpr33
                                        ; implicit-def: $vgpr24_vgpr25
	s_xor_b64 exec, exec, s[10:11]
	s_cbranch_execz .LBB0_12
; %bb.11:
	s_add_u32 s0, s12, s16
	s_addc_u32 s1, s13, s17
	s_load_dwordx2 s[0:1], s[0:1], 0x0
	s_mov_b32 s12, 0x3531ded
	s_waitcnt lgkmcnt(0)
	v_mul_lo_u32 v1, s1, v98
	v_mul_lo_u32 v3, s0, v99
	v_mad_u64_u32 v[6:7], s[0:1], s0, v98, 0
	v_add3_u32 v7, v7, v3, v1
	v_mul_hi_u32 v1, v0, s12
	v_mul_u32_u24_e32 v1, 0x4d, v1
	v_sub_u32_e32 v116, v0, v1
	v_lshl_add_u64 v[0:1], v[6:7], 4, s[4:5]
	v_lshl_add_u64 v[0:1], v[4:5], 4, v[0:1]
	v_lshlrev_b32_e32 v4, 4, v116
	v_mov_b32_e32 v5, 0
	v_lshl_add_u64 v[0:1], v[0:1], 0, v[4:5]
	s_movk_i32 s0, 0x2000
	v_add_co_u32_e64 v4, s[0:1], s0, v0
	s_nop 1
	v_addc_co_u32_e64 v5, s[0:1], 0, v1, s[0:1]
	s_movk_i32 s0, 0x3000
	s_nop 0
	v_add_co_u32_e64 v6, s[0:1], s0, v0
	global_load_dwordx4 v[22:25], v[0:1], off
	global_load_dwordx4 v[26:29], v[0:1], off offset:1232
	global_load_dwordx4 v[30:33], v[4:5], off offset:432
	global_load_dwordx4 v[38:41], v[4:5], off offset:1664
	global_load_dwordx4 v[50:53], v[0:1], off offset:2464
	global_load_dwordx4 v[54:57], v[0:1], off offset:3696
	v_addc_co_u32_e64 v7, s[0:1], 0, v1, s[0:1]
	s_movk_i32 s0, 0x1000
	s_nop 0
	v_add_co_u32_e64 v0, s[0:1], s0, v0
	global_load_dwordx4 v[62:65], v[4:5], off offset:2896
	global_load_dwordx4 v[58:61], v[6:7], off offset:32
	v_addc_co_u32_e64 v1, s[0:1], 0, v1, s[0:1]
	global_load_dwordx4 v[66:69], v[6:7], off offset:1264
	global_load_dwordx4 v[74:77], v[6:7], off offset:2496
	;; [unrolled: 1-line block ×6, first 2 shown]
.LBB0_12:
	s_or_b64 exec, exec, s[10:11]
	s_mov_b32 s0, 0xaaaaaaab
	v_mul_hi_u32 v0, v2, s0
	v_lshrrev_b32_e32 v0, 1, v0
	v_lshl_add_u32 v0, v0, 1, v0
	v_sub_u32_e32 v0, v2, v0
	v_mul_u32_u24_e32 v4, 0x436, v0
	v_lshlrev_b32_e32 v120, 3, v4
	s_waitcnt vmcnt(11)
	v_add_f64 v[2:3], v[22:23], -v[30:31]
	v_add_u32_e32 v6, 0, v120
	v_fma_f64 v[0:1], v[22:23], 2.0, -v[2:3]
	v_lshl_add_u32 v30, v116, 4, v6
	ds_write_b128 v30, v[0:3]
	s_waitcnt vmcnt(10)
	v_add_f64 v[2:3], v[26:27], -v[38:39]
	v_add_u32_e32 v119, 0x4d, v116
	v_fma_f64 v[0:1], v[26:27], 2.0, -v[2:3]
	v_lshl_add_u32 v26, v119, 4, v6
	ds_write_b128 v26, v[0:3]
	s_waitcnt vmcnt(7)
	v_add_f64 v[2:3], v[50:51], -v[62:63]
	v_fma_f64 v[0:1], v[50:51], 2.0, -v[2:3]
	ds_write_b128 v30, v[0:3] offset:2464
	s_waitcnt vmcnt(6)
	v_add_f64 v[2:3], v[54:55], -v[58:59]
	v_fma_f64 v[0:1], v[54:55], 2.0, -v[2:3]
	ds_write_b128 v30, v[0:3] offset:3696
	;; [unrolled: 4-line block ×3, first 2 shown]
	v_add_f64 v[4:5], v[70:71], -v[74:75]
	v_lshlrev_b32_e32 v0, 3, v116
	v_fma_f64 v[2:3], v[70:71], 2.0, -v[4:5]
	s_waitcnt vmcnt(0)
	v_add_f64 v[20:21], v[78:79], -v[84:85]
	v_add_u32_e32 v117, v6, v0
	v_add3_u32 v118, 0, v0, v120
	s_load_dwordx2 s[2:3], s[2:3], 0x0
	v_fma_f64 v[18:19], v[78:79], 2.0, -v[20:21]
	ds_write_b128 v30, v[2:5] offset:6160
	ds_write_b128 v30, v[18:21] offset:7392
	s_waitcnt lgkmcnt(0)
	s_barrier
	v_add_u32_e32 v27, 0x800, v118
	v_add_u32_e32 v31, 0xc00, v118
	;; [unrolled: 1-line block ×4, first 2 shown]
	ds_read_b64 v[88:89], v117
	ds_read2_b64 v[92:95], v118 offset0:98 offset1:196
	ds_read2_b64 v[82:85], v27 offset0:38 offset1:136
	;; [unrolled: 1-line block ×5, first 2 shown]
	v_cmp_gt_u32_e64 s[0:1], 21, v116
	v_add_u32_e32 v58, 0x9a0, v30
	v_add_u32_e32 v43, 0x1340, v30
	;; [unrolled: 1-line block ×3, first 2 shown]
                                        ; implicit-def: $vgpr106_vgpr107
                                        ; implicit-def: $vgpr8_vgpr9
                                        ; implicit-def: $vgpr12_vgpr13
                                        ; implicit-def: $vgpr16_vgpr17
                                        ; implicit-def: $vgpr22_vgpr23
	s_and_saveexec_b64 s[4:5], s[0:1]
	s_cbranch_execz .LBB0_14
; %bb.13:
	v_add_u32_e32 v4, 0x1000, v118
	ds_read2_b64 v[0:3], v118 offset0:77 offset1:175
	ds_read2_b64 v[20:23], v27 offset0:17 offset1:115
	;; [unrolled: 1-line block ×5, first 2 shown]
	ds_read_b64 v[106:107], v118 offset:8456
	s_waitcnt lgkmcnt(5)
	v_mov_b64_e32 v[18:19], v[2:3]
	v_mov_b64_e32 v[4:5], v[0:1]
.LBB0_14:
	s_or_b64 exec, exec, s[4:5]
	v_add_f64 v[102:103], v[24:25], -v[32:33]
	v_add_f64 v[64:65], v[52:53], -v[64:65]
	;; [unrolled: 1-line block ×4, first 2 shown]
	v_fma_f64 v[100:101], v[24:25], 2.0, -v[102:103]
	v_add_f64 v[110:111], v[28:29], -v[40:41]
	v_fma_f64 v[62:63], v[52:53], 2.0, -v[64:65]
	v_add_f64 v[114:115], v[56:57], -v[60:61]
	v_fma_f64 v[66:67], v[90:91], 2.0, -v[68:69]
	v_fma_f64 v[0:1], v[72:73], 2.0, -v[2:3]
	v_add_f64 v[54:55], v[80:81], -v[86:87]
	v_fma_f64 v[108:109], v[28:29], 2.0, -v[110:111]
	v_fma_f64 v[112:113], v[56:57], 2.0, -v[114:115]
	;; [unrolled: 1-line block ×3, first 2 shown]
	s_waitcnt lgkmcnt(0)
	s_barrier
	ds_write_b128 v30, v[100:103]
	ds_write_b128 v26, v[108:111]
	;; [unrolled: 1-line block ×3, first 2 shown]
	ds_write_b128 v30, v[112:115] offset:3696
	ds_write_b128 v43, v[66:69]
	ds_write_b128 v30, v[0:3] offset:6160
	ds_write_b128 v42, v[52:55]
	s_waitcnt lgkmcnt(0)
	s_barrier
	ds_read_b64 v[0:1], v117
	ds_read2_b64 v[72:75], v118 offset0:98 offset1:196
	ds_read2_b64 v[68:71], v27 offset0:38 offset1:136
	;; [unrolled: 1-line block ×5, first 2 shown]
                                        ; implicit-def: $vgpr114_vgpr115
                                        ; implicit-def: $vgpr26_vgpr27
                                        ; implicit-def: $vgpr30_vgpr31
                                        ; implicit-def: $vgpr34_vgpr35
                                        ; implicit-def: $vgpr42_vgpr43
	s_and_saveexec_b64 s[4:5], s[0:1]
	s_cbranch_execz .LBB0_16
; %bb.15:
	v_add_u32_e32 v2, 0x800, v118
	ds_read2_b64 v[40:43], v2 offset0:17 offset1:115
	v_add_u32_e32 v2, 0xc00, v118
	ds_read2_b64 v[32:35], v2 offset0:85 offset1:183
	;; [unrolled: 2-line block ×3, first 2 shown]
	ds_read2_b64 v[28:31], v2 offset0:153 offset1:251
	v_add_u32_e32 v2, 0x1800, v118
	ds_read2_b64 v[24:27], v2 offset0:93 offset1:191
	ds_read_b64 v[114:115], v118 offset:8456
	s_waitcnt lgkmcnt(5)
	v_mov_b64_e32 v[54:55], v[40:41]
	s_waitcnt lgkmcnt(3)
	v_mov_b64_e32 v[52:53], v[78:79]
	v_mov_b64_e32 v[2:3], v[76:77]
.LBB0_16:
	s_or_b64 exec, exec, s[4:5]
	v_and_b32_e32 v122, 1, v116
	v_mul_u32_u24_e32 v40, 10, v122
	v_lshlrev_b32_e32 v104, 4, v40
	global_load_dwordx4 v[76:79], v104, s[8:9]
	global_load_dwordx4 v[100:103], v104, s[8:9] offset:16
	global_load_dwordx4 v[108:111], v104, s[8:9] offset:32
	;; [unrolled: 1-line block ×4, first 2 shown]
	v_and_b32_e32 v121, 1, v119
	s_mov_b32 s4, 0xf8bb580b
	s_mov_b32 s10, 0x8eee2c13
	;; [unrolled: 1-line block ×28, first 2 shown]
	s_waitcnt vmcnt(4) lgkmcnt(4)
	v_mul_f64 v[80:81], v[72:73], v[78:79]
	v_mul_f64 v[40:41], v[92:93], v[78:79]
	v_fmac_f64_e32 v[80:81], v[92:93], v[76:77]
	v_fma_f64 v[86:87], v[72:73], v[76:77], -v[40:41]
	global_load_dwordx4 v[90:93], v104, s[8:9] offset:80
	s_waitcnt vmcnt(4)
	v_mul_f64 v[40:41], v[94:95], v[102:103]
	v_mul_f64 v[76:77], v[74:75], v[102:103]
	v_fma_f64 v[78:79], v[74:75], v[100:101], -v[40:41]
	s_waitcnt vmcnt(3) lgkmcnt(3)
	v_mul_f64 v[72:73], v[68:69], v[110:111]
	v_mul_f64 v[40:41], v[82:83], v[110:111]
	v_fmac_f64_e32 v[76:77], v[94:95], v[100:101]
	global_load_dwordx4 v[100:103], v104, s[8:9] offset:96
	v_fmac_f64_e32 v[72:73], v[82:83], v[108:109]
	v_fma_f64 v[74:75], v[68:69], v[108:109], -v[40:41]
	global_load_dwordx4 v[108:111], v104, s[8:9] offset:112
	s_waitcnt vmcnt(4)
	v_mul_f64 v[40:41], v[70:71], v[126:127]
	v_mul_f64 v[68:69], v[84:85], v[126:127]
	v_fmac_f64_e32 v[40:41], v[84:85], v[124:125]
	v_fma_f64 v[68:69], v[70:71], v[124:125], -v[68:69]
	global_load_dwordx4 v[124:127], v104, s[8:9] offset:128
	s_waitcnt vmcnt(4) lgkmcnt(2)
	v_mul_f64 v[70:71], v[64:65], v[130:131]
	v_mul_f64 v[82:83], v[48:49], v[130:131]
	v_fmac_f64_e32 v[70:71], v[48:49], v[128:129]
	v_fma_f64 v[48:49], v[64:65], v[128:129], -v[82:83]
	v_mul_u32_u24_e32 v82, 10, v121
	global_load_dwordx4 v[128:131], v104, s[8:9] offset:144
	v_lshlrev_b32_e32 v84, 4, v82
	global_load_dwordx4 v[132:135], v84, s[8:9]
	global_load_dwordx4 v[136:139], v84, s[8:9] offset:32
	global_load_dwordx4 v[142:145], v84, s[8:9] offset:128
	s_waitcnt vmcnt(7)
	v_mul_f64 v[64:65], v[66:67], v[92:93]
	v_fmac_f64_e32 v[64:65], v[50:51], v[90:91]
	v_mul_f64 v[50:51], v[50:51], v[92:93]
	v_fma_f64 v[66:67], v[66:67], v[90:91], -v[50:51]
	s_waitcnt vmcnt(6) lgkmcnt(1)
	v_mul_f64 v[82:83], v[60:61], v[102:103]
	v_mul_f64 v[50:51], v[44:45], v[102:103]
	v_fmac_f64_e32 v[82:83], v[44:45], v[100:101]
	s_waitcnt vmcnt(5)
	v_mul_f64 v[90:91], v[62:63], v[110:111]
	v_fma_f64 v[60:61], v[60:61], v[100:101], -v[50:51]
	v_mul_f64 v[50:51], v[46:47], v[110:111]
	v_fmac_f64_e32 v[90:91], v[46:47], v[108:109]
	global_load_dwordx4 v[44:47], v84, s[8:9] offset:16
	v_fma_f64 v[92:93], v[62:63], v[108:109], -v[50:51]
	s_waitcnt vmcnt(5) lgkmcnt(0)
	v_mul_f64 v[102:103], v[56:57], v[126:127]
	v_mul_f64 v[50:51], v[36:37], v[126:127]
	v_fmac_f64_e32 v[102:103], v[36:37], v[124:125]
	v_fma_f64 v[104:105], v[56:57], v[124:125], -v[50:51]
	global_load_dwordx4 v[124:127], v84, s[8:9] offset:48
	s_waitcnt vmcnt(5)
	v_mul_f64 v[108:109], v[58:59], v[130:131]
	v_mul_f64 v[36:37], v[38:39], v[130:131]
	v_fmac_f64_e32 v[108:109], v[38:39], v[128:129]
	v_fma_f64 v[112:113], v[58:59], v[128:129], -v[36:37]
	s_waitcnt vmcnt(4)
	v_mul_f64 v[56:57], v[52:53], v[134:135]
	v_mul_f64 v[36:37], v[18:19], v[134:135]
	global_load_dwordx4 v[128:131], v84, s[8:9] offset:64
	v_fmac_f64_e32 v[56:57], v[18:19], v[132:133]
	v_fma_f64 v[58:59], v[52:53], v[132:133], -v[36:37]
	global_load_dwordx4 v[132:135], v84, s[8:9] offset:96
	s_waitcnt vmcnt(3)
	v_mul_f64 v[38:39], v[54:55], v[46:47]
	v_mul_f64 v[36:37], v[20:21], v[46:47]
	v_fmac_f64_e32 v[38:39], v[20:21], v[44:45]
	global_load_dwordx4 v[18:21], v84, s[8:9] offset:80
	v_fma_f64 v[44:45], v[54:55], v[44:45], -v[36:37]
	v_mul_f64 v[36:37], v[42:43], v[138:139]
	v_mul_f64 v[46:47], v[22:23], v[138:139]
	global_load_dwordx4 v[138:141], v84, s[8:9] offset:112
	v_fmac_f64_e32 v[36:37], v[22:23], v[136:137]
	v_fma_f64 v[50:51], v[42:43], v[136:137], -v[46:47]
	s_waitcnt vmcnt(4)
	v_mul_f64 v[42:43], v[32:33], v[126:127]
	v_mul_f64 v[22:23], v[14:15], v[126:127]
	v_fmac_f64_e32 v[42:43], v[14:15], v[124:125]
	v_fma_f64 v[32:33], v[32:33], v[124:125], -v[22:23]
	global_load_dwordx4 v[124:127], v84, s[8:9] offset:144
	s_waitcnt vmcnt(4)
	v_mul_f64 v[46:47], v[34:35], v[130:131]
	s_waitcnt vmcnt(3)
	v_mul_f64 v[54:55], v[30:31], v[134:135]
	v_mul_f64 v[94:95], v[26:27], v[144:145]
	v_fmac_f64_e32 v[46:47], v[16:17], v[128:129]
	v_mul_f64 v[14:15], v[16:17], v[130:131]
	v_fmac_f64_e32 v[54:55], v[12:13], v[132:133]
	v_fmac_f64_e32 v[94:95], v[8:9], v[142:143]
	v_fma_f64 v[34:35], v[34:35], v[128:129], -v[14:15]
	s_barrier
	s_waitcnt vmcnt(2)
	v_mul_f64 v[52:53], v[28:29], v[20:21]
	v_fmac_f64_e32 v[52:53], v[10:11], v[18:19]
	v_mul_f64 v[10:11], v[10:11], v[20:21]
	v_fma_f64 v[28:29], v[28:29], v[18:19], -v[10:11]
	s_waitcnt vmcnt(1)
	v_mul_f64 v[62:63], v[24:25], v[140:141]
	v_mul_f64 v[10:11], v[12:13], v[134:135]
	v_fmac_f64_e32 v[62:63], v[6:7], v[138:139]
	v_mul_f64 v[6:7], v[6:7], v[140:141]
	v_fma_f64 v[30:31], v[30:31], v[132:133], -v[10:11]
	v_fma_f64 v[84:85], v[24:25], v[138:139], -v[6:7]
	v_mul_f64 v[6:7], v[8:9], v[144:145]
	v_add_f64 v[10:11], v[86:87], -v[112:113]
	v_fma_f64 v[100:101], v[26:27], v[142:143], -v[6:7]
	s_waitcnt vmcnt(0)
	v_mul_f64 v[110:111], v[114:115], v[126:127]
	v_mul_f64 v[6:7], v[106:107], v[126:127]
	v_add_f64 v[8:9], v[80:81], v[108:109]
	v_mul_f64 v[12:13], v[10:11], s[4:5]
	v_mul_f64 v[16:17], v[10:11], s[10:11]
	;; [unrolled: 1-line block ×5, first 2 shown]
	v_fmac_f64_e32 v[110:111], v[106:107], v[124:125]
	v_fma_f64 v[106:107], v[114:115], v[124:125], -v[6:7]
	v_fma_f64 v[14:15], s[12:13], v[8:9], v[12:13]
	v_fma_f64 v[12:13], v[8:9], s[12:13], -v[12:13]
	v_fma_f64 v[18:19], s[16:17], v[8:9], v[16:17]
	;; [unrolled: 2-line block ×5, first 2 shown]
	v_fma_f64 v[8:9], v[8:9], s[26:27], -v[10:11]
	v_add_f64 v[6:7], v[88:89], v[80:81]
	v_add_f64 v[14:15], v[88:89], v[14:15]
	;; [unrolled: 1-line block ×11, first 2 shown]
	v_add_f64 v[88:89], v[78:79], -v[104:105]
	v_add_f64 v[10:11], v[76:77], v[102:103]
	v_mul_f64 v[124:125], v[88:89], s[10:11]
	v_fma_f64 v[126:127], s[16:17], v[10:11], v[124:125]
	v_fma_f64 v[124:125], v[10:11], s[16:17], -v[124:125]
	v_add_f64 v[12:13], v[124:125], v[12:13]
	v_mul_f64 v[124:125], v[88:89], s[20:21]
	v_add_f64 v[14:15], v[126:127], v[14:15]
	v_fma_f64 v[126:127], s[22:23], v[10:11], v[124:125]
	v_fma_f64 v[124:125], v[10:11], s[22:23], -v[124:125]
	v_add_f64 v[16:17], v[124:125], v[16:17]
	v_mul_f64 v[124:125], v[88:89], s[30:31]
	v_add_f64 v[18:19], v[126:127], v[18:19]
	v_fma_f64 v[126:127], s[26:27], v[10:11], v[124:125]
	v_fma_f64 v[124:125], v[10:11], s[26:27], -v[124:125]
	v_add_f64 v[20:21], v[124:125], v[20:21]
	v_mul_f64 v[124:125], v[88:89], s[28:29]
	v_add_f64 v[22:23], v[126:127], v[22:23]
	v_fma_f64 v[126:127], s[18:19], v[10:11], v[124:125]
	v_fma_f64 v[124:125], v[10:11], s[18:19], -v[124:125]
	v_mul_f64 v[88:89], v[88:89], s[34:35]
	v_add_f64 v[24:25], v[124:125], v[24:25]
	v_fma_f64 v[124:125], s[12:13], v[10:11], v[88:89]
	v_fma_f64 v[10:11], v[10:11], s[12:13], -v[88:89]
	v_add_f64 v[88:89], v[74:75], -v[92:93]
	v_add_f64 v[114:115], v[124:125], v[114:115]
	v_add_f64 v[8:9], v[10:11], v[8:9]
	v_add_f64 v[10:11], v[72:73], v[90:91]
	v_mul_f64 v[124:125], v[88:89], s[14:15]
	v_add_f64 v[26:27], v[126:127], v[26:27]
	v_fma_f64 v[126:127], s[18:19], v[10:11], v[124:125]
	v_fma_f64 v[124:125], v[10:11], s[18:19], -v[124:125]
	v_add_f64 v[12:13], v[124:125], v[12:13]
	v_mul_f64 v[124:125], v[88:89], s[30:31]
	v_add_f64 v[14:15], v[126:127], v[14:15]
	v_fma_f64 v[126:127], s[26:27], v[10:11], v[124:125]
	v_fma_f64 v[124:125], v[10:11], s[26:27], -v[124:125]
	v_add_f64 v[16:17], v[124:125], v[16:17]
	v_mul_f64 v[124:125], v[88:89], s[36:37]
	v_add_f64 v[18:19], v[126:127], v[18:19]
	v_fma_f64 v[126:127], s[16:17], v[10:11], v[124:125]
	v_fma_f64 v[124:125], v[10:11], s[16:17], -v[124:125]
	v_add_f64 v[20:21], v[124:125], v[20:21]
	v_mul_f64 v[124:125], v[88:89], s[4:5]
	v_add_f64 v[22:23], v[126:127], v[22:23]
	v_fma_f64 v[126:127], s[12:13], v[10:11], v[124:125]
	v_fma_f64 v[124:125], v[10:11], s[12:13], -v[124:125]
	v_mul_f64 v[88:89], v[88:89], s[20:21]
	v_add_f64 v[24:25], v[124:125], v[24:25]
	v_fma_f64 v[124:125], s[22:23], v[10:11], v[88:89]
	v_fma_f64 v[10:11], v[10:11], s[22:23], -v[88:89]
	v_add_f64 v[88:89], v[68:69], -v[60:61]
	v_add_f64 v[114:115], v[124:125], v[114:115]
	v_add_f64 v[8:9], v[10:11], v[8:9]
	v_add_f64 v[10:11], v[40:41], v[82:83]
	v_mul_f64 v[124:125], v[88:89], s[20:21]
	v_add_f64 v[26:27], v[126:127], v[26:27]
	;; [unrolled: 27-line block ×3, first 2 shown]
	v_fma_f64 v[126:127], s[26:27], v[10:11], v[124:125]
	v_fma_f64 v[124:125], v[10:11], s[26:27], -v[124:125]
	v_add_f64 v[12:13], v[124:125], v[12:13]
	v_mul_f64 v[124:125], v[88:89], s[34:35]
	v_add_f64 v[14:15], v[126:127], v[14:15]
	v_fma_f64 v[126:127], s[12:13], v[10:11], v[124:125]
	v_fma_f64 v[124:125], v[10:11], s[12:13], -v[124:125]
	v_add_f64 v[16:17], v[124:125], v[16:17]
	v_mul_f64 v[124:125], v[88:89], s[20:21]
	v_add_f64 v[6:7], v[6:7], v[76:77]
	v_add_f64 v[18:19], v[126:127], v[18:19]
	v_fma_f64 v[126:127], s[22:23], v[10:11], v[124:125]
	v_fma_f64 v[124:125], v[10:11], s[22:23], -v[124:125]
	v_add_f64 v[6:7], v[6:7], v[72:73]
	v_add_f64 v[20:21], v[124:125], v[20:21]
	v_mul_f64 v[124:125], v[88:89], s[36:37]
	v_add_f64 v[6:7], v[6:7], v[40:41]
	v_add_f64 v[22:23], v[126:127], v[22:23]
	v_fma_f64 v[126:127], s[16:17], v[10:11], v[124:125]
	v_fma_f64 v[124:125], v[10:11], s[16:17], -v[124:125]
	v_mul_f64 v[88:89], v[88:89], s[14:15]
	v_add_f64 v[6:7], v[6:7], v[70:71]
	v_add_f64 v[24:25], v[124:125], v[24:25]
	v_fma_f64 v[124:125], s[18:19], v[10:11], v[88:89]
	v_fma_f64 v[10:11], v[10:11], s[18:19], -v[88:89]
	v_add_f64 v[6:7], v[6:7], v[64:65]
	v_add_f64 v[8:9], v[10:11], v[8:9]
	v_lshrrev_b32_e32 v10, 1, v116
	v_add_f64 v[6:7], v[6:7], v[82:83]
	v_mul_u32_u24_e32 v10, 22, v10
	v_add_f64 v[6:7], v[6:7], v[90:91]
	v_or_b32_e32 v10, v10, v122
	v_add_f64 v[6:7], v[6:7], v[102:103]
	v_lshlrev_b32_e32 v10, 3, v10
	v_add_f64 v[6:7], v[6:7], v[108:109]
	v_add3_u32 v89, 0, v10, v120
	v_lshrrev_b32_e32 v88, 1, v119
	v_add_f64 v[26:27], v[126:127], v[26:27]
	v_add_f64 v[114:115], v[124:125], v[114:115]
	ds_write2_b64 v89, v[6:7], v[14:15] offset1:2
	ds_write2_b64 v89, v[18:19], v[22:23] offset0:4 offset1:6
	ds_write2_b64 v89, v[26:27], v[114:115] offset0:8 offset1:10
	;; [unrolled: 1-line block ×4, first 2 shown]
	ds_write_b64 v89, v[12:13] offset:160
	s_and_saveexec_b64 s[38:39], s[0:1]
	s_cbranch_execz .LBB0_18
; %bb.17:
	v_add_f64 v[132:133], v[58:59], -v[106:107]
	v_add_f64 v[124:125], v[44:45], -v[100:101]
	v_add_f64 v[130:131], v[56:57], v[110:111]
	v_mul_f64 v[134:135], v[132:133], s[24:25]
	v_add_f64 v[24:25], v[50:51], -v[84:85]
	v_add_f64 v[122:123], v[38:39], v[94:95]
	v_mul_f64 v[126:127], v[124:125], s[34:35]
	v_fma_f64 v[136:137], v[130:131], s[26:27], -v[134:135]
	v_add_f64 v[16:17], v[32:33], -v[30:31]
	v_add_f64 v[22:23], v[36:37], v[62:63]
	v_mul_f64 v[26:27], v[24:25], s[20:21]
	v_fma_f64 v[128:129], v[122:123], s[12:13], -v[126:127]
	v_add_f64 v[136:137], v[4:5], v[136:137]
	v_add_f64 v[8:9], v[34:35], -v[28:29]
	v_add_f64 v[14:15], v[42:43], v[54:55]
	v_mul_f64 v[18:19], v[16:17], s[36:37]
	v_fma_f64 v[114:115], v[22:23], s[22:23], -v[26:27]
	v_add_f64 v[128:129], v[128:129], v[136:137]
	v_add_f64 v[6:7], v[46:47], v[52:53]
	v_mul_f64 v[10:11], v[8:9], s[14:15]
	v_fma_f64 v[20:21], v[14:15], s[16:17], -v[18:19]
	v_add_f64 v[114:115], v[114:115], v[128:129]
	v_fma_f64 v[12:13], v[6:7], s[18:19], -v[10:11]
	v_add_f64 v[20:21], v[20:21], v[114:115]
	v_fmac_f64_e32 v[134:135], s[26:27], v[130:131]
	v_add_f64 v[12:13], v[12:13], v[20:21]
	v_fmac_f64_e32 v[126:127], s[12:13], v[122:123]
	v_add_f64 v[20:21], v[4:5], v[134:135]
	v_mul_f64 v[138:139], v[132:133], s[20:21]
	v_fmac_f64_e32 v[26:27], s[22:23], v[22:23]
	v_add_f64 v[20:21], v[126:127], v[20:21]
	v_mul_f64 v[134:135], v[124:125], s[28:29]
	v_fma_f64 v[140:141], v[130:131], s[22:23], -v[138:139]
	v_fmac_f64_e32 v[18:19], s[16:17], v[14:15]
	v_add_f64 v[20:21], v[26:27], v[20:21]
	v_mul_f64 v[126:127], v[24:25], s[4:5]
	v_fma_f64 v[136:137], v[122:123], s[18:19], -v[134:135]
	v_add_f64 v[140:141], v[4:5], v[140:141]
	v_fmac_f64_e32 v[10:11], s[18:19], v[6:7]
	v_add_f64 v[18:19], v[18:19], v[20:21]
	v_mul_f64 v[26:27], v[16:17], s[24:25]
	v_fma_f64 v[128:129], v[22:23], s[12:13], -v[126:127]
	v_add_f64 v[136:137], v[136:137], v[140:141]
	v_add_f64 v[10:11], v[10:11], v[18:19]
	v_mul_f64 v[18:19], v[8:9], s[36:37]
	v_fma_f64 v[114:115], v[14:15], s[26:27], -v[26:27]
	v_add_f64 v[128:129], v[128:129], v[136:137]
	v_fma_f64 v[20:21], v[6:7], s[16:17], -v[18:19]
	v_add_f64 v[114:115], v[114:115], v[128:129]
	v_fmac_f64_e32 v[138:139], s[22:23], v[130:131]
	v_add_f64 v[20:21], v[20:21], v[114:115]
	v_fmac_f64_e32 v[134:135], s[18:19], v[122:123]
	v_add_f64 v[114:115], v[4:5], v[138:139]
	v_mul_f64 v[142:143], v[132:133], s[14:15]
	v_fmac_f64_e32 v[126:127], s[12:13], v[22:23]
	v_add_f64 v[114:115], v[134:135], v[114:115]
	v_mul_f64 v[138:139], v[124:125], s[30:31]
	v_fma_f64 v[144:145], v[130:131], s[18:19], -v[142:143]
	v_fmac_f64_e32 v[26:27], s[26:27], v[14:15]
	v_add_f64 v[114:115], v[126:127], v[114:115]
	v_mul_f64 v[134:135], v[24:25], s[36:37]
	v_fma_f64 v[140:141], v[122:123], s[26:27], -v[138:139]
	v_add_f64 v[144:145], v[4:5], v[144:145]
	v_fmac_f64_e32 v[18:19], s[16:17], v[6:7]
	;; [unrolled: 25-line block ×3, first 2 shown]
	v_add_f64 v[126:127], v[126:127], v[128:129]
	v_mul_f64 v[134:135], v[16:17], s[28:29]
	v_fma_f64 v[140:141], v[22:23], s[26:27], -v[138:139]
	v_add_f64 v[144:145], v[144:145], v[148:149]
	v_add_f64 v[26:27], v[26:27], v[126:127]
	v_mul_f64 v[126:127], v[8:9], s[34:35]
	v_fma_f64 v[136:137], v[14:15], s[18:19], -v[134:135]
	v_add_f64 v[140:141], v[140:141], v[144:145]
	v_fma_f64 v[128:129], v[6:7], s[12:13], -v[126:127]
	v_add_f64 v[136:137], v[136:137], v[140:141]
	v_fmac_f64_e32 v[146:147], s[16:17], v[130:131]
	v_add_f64 v[128:129], v[128:129], v[136:137]
	v_fmac_f64_e32 v[142:143], s[22:23], v[122:123]
	;; [unrolled: 2-line block ×4, first 2 shown]
	v_add_f64 v[136:137], v[138:139], v[136:137]
	v_mul_f64 v[132:133], v[132:133], s[4:5]
	v_fmac_f64_e32 v[126:127], s[12:13], v[6:7]
	v_add_f64 v[134:135], v[134:135], v[136:137]
	v_mul_f64 v[8:9], v[8:9], s[24:25]
	v_fma_f64 v[142:143], v[130:131], s[12:13], -v[132:133]
	v_fmac_f64_e32 v[132:133], s[12:13], v[130:131]
	v_add_f64 v[126:127], v[126:127], v[134:135]
	v_fma_f64 v[134:135], v[6:7], s[26:27], -v[8:9]
	v_add_f64 v[142:143], v[4:5], v[142:143]
	v_fmac_f64_e32 v[8:9], s[26:27], v[6:7]
	v_add_f64 v[6:7], v[4:5], v[132:133]
	v_add_f64 v[4:5], v[4:5], v[56:57]
	v_mul_f64 v[124:125], v[124:125], s[10:11]
	v_add_f64 v[4:5], v[4:5], v[38:39]
	v_mul_f64 v[24:25], v[24:25], s[14:15]
	v_fma_f64 v[140:141], v[122:123], s[16:17], -v[124:125]
	v_fmac_f64_e32 v[124:125], s[16:17], v[122:123]
	v_add_f64 v[4:5], v[4:5], v[36:37]
	v_mul_f64 v[16:17], v[16:17], s[20:21]
	v_fma_f64 v[138:139], v[22:23], s[18:19], -v[24:25]
	v_fmac_f64_e32 v[24:25], s[18:19], v[22:23]
	v_add_f64 v[6:7], v[124:125], v[6:7]
	v_add_f64 v[4:5], v[4:5], v[42:43]
	v_fma_f64 v[136:137], v[14:15], s[22:23], -v[16:17]
	v_fmac_f64_e32 v[16:17], s[22:23], v[14:15]
	v_add_f64 v[6:7], v[24:25], v[6:7]
	v_add_f64 v[4:5], v[4:5], v[46:47]
	;; [unrolled: 1-line block ×6, first 2 shown]
	v_mul_u32_u24_e32 v8, 22, v88
	v_add_f64 v[140:141], v[140:141], v[142:143]
	v_add_f64 v[4:5], v[4:5], v[62:63]
	v_or_b32_e32 v8, v8, v121
	v_add_f64 v[138:139], v[138:139], v[140:141]
	v_add_f64 v[4:5], v[4:5], v[94:95]
	v_lshlrev_b32_e32 v8, 3, v8
	v_add_f64 v[136:137], v[136:137], v[138:139]
	v_add_f64 v[4:5], v[4:5], v[110:111]
	v_add3_u32 v8, 0, v8, v120
	v_add_f64 v[134:135], v[134:135], v[136:137]
	ds_write2_b64 v8, v[4:5], v[6:7] offset1:2
	ds_write2_b64 v8, v[126:127], v[26:27] offset0:4 offset1:6
	ds_write2_b64 v8, v[18:19], v[10:11] offset0:8 offset1:10
	;; [unrolled: 1-line block ×4, first 2 shown]
	ds_write_b64 v8, v[134:135] offset:160
.LBB0_18:
	s_or_b64 exec, exec, s[38:39]
	v_add_f64 v[4:5], v[0:1], v[86:87]
	v_add_f64 v[4:5], v[4:5], v[78:79]
	;; [unrolled: 1-line block ×11, first 2 shown]
	v_add_f64 v[6:7], v[80:81], -v[108:109]
	v_mul_f64 v[8:9], v[4:5], s[12:13]
	v_mul_f64 v[12:13], v[4:5], s[16:17]
	;; [unrolled: 1-line block ×4, first 2 shown]
	s_mov_b32 s39, 0x3fe82f19
	s_mov_b32 s38, s20
	v_mul_f64 v[4:5], v[4:5], s[26:27]
	v_fma_f64 v[10:11], s[34:35], v[6:7], v[8:9]
	v_fmac_f64_e32 v[8:9], s[4:5], v[6:7]
	v_fma_f64 v[14:15], s[36:37], v[6:7], v[12:13]
	v_fmac_f64_e32 v[12:13], s[10:11], v[6:7]
	;; [unrolled: 2-line block ×5, first 2 shown]
	v_add_f64 v[10:11], v[0:1], v[10:11]
	v_add_f64 v[8:9], v[0:1], v[8:9]
	v_add_f64 v[14:15], v[0:1], v[14:15]
	v_add_f64 v[12:13], v[0:1], v[12:13]
	v_add_f64 v[18:19], v[0:1], v[18:19]
	v_add_f64 v[16:17], v[0:1], v[16:17]
	v_add_f64 v[22:23], v[0:1], v[22:23]
	v_add_f64 v[20:21], v[0:1], v[20:21]
	v_add_f64 v[24:25], v[0:1], v[24:25]
	v_add_f64 v[0:1], v[0:1], v[4:5]
	v_add_f64 v[4:5], v[78:79], v[104:105]
	v_add_f64 v[6:7], v[76:77], -v[102:103]
	v_mul_f64 v[26:27], v[4:5], s[16:17]
	v_fma_f64 v[76:77], s[36:37], v[6:7], v[26:27]
	v_fmac_f64_e32 v[26:27], s[10:11], v[6:7]
	v_add_f64 v[8:9], v[26:27], v[8:9]
	v_mul_f64 v[26:27], v[4:5], s[22:23]
	v_add_f64 v[10:11], v[76:77], v[10:11]
	v_fma_f64 v[76:77], s[38:39], v[6:7], v[26:27]
	v_fmac_f64_e32 v[26:27], s[20:21], v[6:7]
	v_add_f64 v[12:13], v[26:27], v[12:13]
	v_mul_f64 v[26:27], v[4:5], s[26:27]
	v_add_f64 v[14:15], v[76:77], v[14:15]
	v_fma_f64 v[76:77], s[24:25], v[6:7], v[26:27]
	v_fmac_f64_e32 v[26:27], s[30:31], v[6:7]
	v_add_f64 v[16:17], v[26:27], v[16:17]
	v_mul_f64 v[26:27], v[4:5], s[18:19]
	v_add_f64 v[18:19], v[76:77], v[18:19]
	v_fma_f64 v[76:77], s[14:15], v[6:7], v[26:27]
	v_fmac_f64_e32 v[26:27], s[28:29], v[6:7]
	v_mul_f64 v[4:5], v[4:5], s[12:13]
	v_add_f64 v[20:21], v[26:27], v[20:21]
	v_fma_f64 v[26:27], s[4:5], v[6:7], v[4:5]
	v_fmac_f64_e32 v[4:5], s[34:35], v[6:7]
	v_add_f64 v[0:1], v[4:5], v[0:1]
	v_add_f64 v[4:5], v[74:75], v[92:93]
	v_add_f64 v[24:25], v[26:27], v[24:25]
	v_add_f64 v[6:7], v[72:73], -v[90:91]
	v_mul_f64 v[26:27], v[4:5], s[18:19]
	v_fma_f64 v[72:73], s[28:29], v[6:7], v[26:27]
	v_fmac_f64_e32 v[26:27], s[14:15], v[6:7]
	v_add_f64 v[8:9], v[26:27], v[8:9]
	v_mul_f64 v[26:27], v[4:5], s[26:27]
	v_add_f64 v[10:11], v[72:73], v[10:11]
	v_fma_f64 v[72:73], s[24:25], v[6:7], v[26:27]
	v_fmac_f64_e32 v[26:27], s[30:31], v[6:7]
	v_add_f64 v[12:13], v[26:27], v[12:13]
	v_mul_f64 v[26:27], v[4:5], s[16:17]
	v_add_f64 v[14:15], v[72:73], v[14:15]
	v_fma_f64 v[72:73], s[10:11], v[6:7], v[26:27]
	v_fmac_f64_e32 v[26:27], s[36:37], v[6:7]
	v_add_f64 v[16:17], v[26:27], v[16:17]
	v_mul_f64 v[26:27], v[4:5], s[12:13]
	v_add_f64 v[18:19], v[72:73], v[18:19]
	v_fma_f64 v[72:73], s[34:35], v[6:7], v[26:27]
	v_fmac_f64_e32 v[26:27], s[4:5], v[6:7]
	v_mul_f64 v[4:5], v[4:5], s[22:23]
	v_add_f64 v[20:21], v[26:27], v[20:21]
	v_fma_f64 v[26:27], s[38:39], v[6:7], v[4:5]
	v_fmac_f64_e32 v[4:5], s[20:21], v[6:7]
	v_add_f64 v[0:1], v[4:5], v[0:1]
	v_add_f64 v[4:5], v[68:69], v[60:61]
	v_add_f64 v[24:25], v[26:27], v[24:25]
	;; [unrolled: 26-line block ×3, first 2 shown]
	v_add_f64 v[22:23], v[72:73], v[22:23]
	v_add_f64 v[24:25], v[26:27], v[24:25]
	v_add_f64 v[6:7], v[70:71], -v[64:65]
	v_mul_f64 v[26:27], v[4:5], s[26:27]
	v_add_f64 v[22:23], v[40:41], v[22:23]
	v_fma_f64 v[40:41], s[30:31], v[6:7], v[26:27]
	v_fmac_f64_e32 v[26:27], s[24:25], v[6:7]
	v_add_f64 v[68:69], v[26:27], v[8:9]
	v_mul_f64 v[8:9], v[4:5], s[12:13]
	v_add_f64 v[66:67], v[40:41], v[10:11]
	v_fma_f64 v[10:11], s[4:5], v[6:7], v[8:9]
	v_fmac_f64_e32 v[8:9], s[34:35], v[6:7]
	v_add_f64 v[72:73], v[8:9], v[12:13]
	;; [unrolled: 5-line block ×3, first 2 shown]
	v_mul_f64 v[8:9], v[4:5], s[16:17]
	v_add_f64 v[74:75], v[10:11], v[18:19]
	v_fma_f64 v[10:11], s[10:11], v[6:7], v[8:9]
	v_fmac_f64_e32 v[8:9], s[36:37], v[6:7]
	v_mul_f64 v[4:5], v[4:5], s[18:19]
	v_add_f64 v[80:81], v[8:9], v[20:21]
	v_fma_f64 v[8:9], s[28:29], v[6:7], v[4:5]
	v_fmac_f64_e32 v[4:5], s[14:15], v[6:7]
	v_add_u32_e32 v48, 0x400, v118
	v_add_u32_e32 v49, 0x800, v118
	;; [unrolled: 1-line block ×5, first 2 shown]
	v_add_f64 v[78:79], v[10:11], v[22:23]
	v_add_f64 v[82:83], v[8:9], v[24:25]
	;; [unrolled: 1-line block ×3, first 2 shown]
	s_waitcnt lgkmcnt(0)
	s_barrier
	ds_read2_b64 v[4:7], v118 offset0:77 offset1:154
	ds_read2_b64 v[8:11], v48 offset0:103 offset1:180
	;; [unrolled: 1-line block ×6, first 2 shown]
	ds_read_b64 v[0:1], v117
	ds_read_b64 v[40:41], v118 offset:8008
	s_waitcnt lgkmcnt(0)
	s_barrier
	ds_write2_b64 v89, v[114:115], v[66:67] offset1:2
	ds_write2_b64 v89, v[70:71], v[74:75] offset0:4 offset1:6
	ds_write2_b64 v89, v[78:79], v[82:83] offset0:8 offset1:10
	;; [unrolled: 1-line block ×4, first 2 shown]
	ds_write_b64 v89, v[68:69] offset:160
	s_and_saveexec_b64 s[4:5], s[0:1]
	s_cbranch_execz .LBB0_20
; %bb.19:
	s_mov_b32 s0, 0x8764f0ba
	s_mov_b32 s12, 0xd9c712b6
	;; [unrolled: 1-line block ×5, first 2 shown]
	v_add_f64 v[66:67], v[2:3], v[58:59]
	v_add_f64 v[58:59], v[58:59], v[106:107]
	s_mov_b32 s1, 0x3feaeb8c
	s_mov_b32 s10, 0xf8bb580b
	;; [unrolled: 1-line block ×10, first 2 shown]
	v_add_f64 v[66:67], v[66:67], v[44:45]
	v_add_f64 v[56:57], v[56:57], -v[110:111]
	v_mul_f64 v[68:69], v[58:59], s[0:1]
	s_mov_b32 s11, 0x3fe14ced
	s_mov_b32 s17, 0xbfe14ced
	s_mov_b32 s16, s10
	v_mul_f64 v[72:73], v[58:59], s[12:13]
	s_mov_b32 s15, 0x3fed1bb4
	s_mov_b32 s19, 0xbfed1bb4
	s_mov_b32 s18, s14
	;; [unrolled: 4-line block ×3, first 2 shown]
	v_mul_f64 v[80:81], v[58:59], s[26:27]
	s_mov_b32 s29, 0xbfe82f19
	s_mov_b32 s28, s38
	v_mul_f64 v[58:59], v[58:59], s[30:31]
	s_mov_b32 s35, 0x3fd207e7
	s_mov_b32 s37, 0xbfd207e7
	;; [unrolled: 1-line block ×3, first 2 shown]
	v_add_f64 v[44:45], v[44:45], v[100:101]
	v_fma_f64 v[70:71], s[10:11], v[56:57], v[68:69]
	v_fmac_f64_e32 v[68:69], s[16:17], v[56:57]
	v_fma_f64 v[74:75], s[14:15], v[56:57], v[72:73]
	v_fmac_f64_e32 v[72:73], s[18:19], v[56:57]
	;; [unrolled: 2-line block ×5, first 2 shown]
	v_add_f64 v[38:39], v[38:39], -v[94:95]
	v_mul_f64 v[56:57], v[44:45], s[12:13]
	v_add_f64 v[70:71], v[2:3], v[70:71]
	v_add_f64 v[68:69], v[2:3], v[68:69]
	;; [unrolled: 1-line block ×10, first 2 shown]
	v_fma_f64 v[58:59], s[14:15], v[38:39], v[56:57]
	v_fmac_f64_e32 v[56:57], s[18:19], v[38:39]
	v_add_f64 v[56:57], v[56:57], v[68:69]
	v_mul_f64 v[68:69], v[44:45], s[26:27]
	v_add_f64 v[58:59], v[58:59], v[70:71]
	v_fma_f64 v[70:71], s[38:39], v[38:39], v[68:69]
	v_fmac_f64_e32 v[68:69], s[28:29], v[38:39]
	v_add_f64 v[68:69], v[68:69], v[72:73]
	v_mul_f64 v[72:73], v[44:45], s[30:31]
	v_add_f64 v[70:71], v[70:71], v[74:75]
	;; [unrolled: 5-line block ×3, first 2 shown]
	v_fma_f64 v[78:79], s[24:25], v[38:39], v[76:77]
	v_fmac_f64_e32 v[76:77], s[22:23], v[38:39]
	v_mul_f64 v[44:45], v[44:45], s[0:1]
	v_add_f64 v[76:77], v[76:77], v[80:81]
	v_fma_f64 v[80:81], s[16:17], v[38:39], v[44:45]
	v_fmac_f64_e32 v[44:45], s[10:11], v[38:39]
	v_add_f64 v[38:39], v[50:51], v[84:85]
	v_add_f64 v[66:67], v[66:67], v[50:51]
	;; [unrolled: 1-line block ×3, first 2 shown]
	v_add_f64 v[36:37], v[36:37], -v[62:63]
	v_mul_f64 v[44:45], v[38:39], s[20:21]
	v_add_f64 v[66:67], v[66:67], v[32:33]
	v_fma_f64 v[50:51], s[22:23], v[36:37], v[44:45]
	v_fmac_f64_e32 v[44:45], s[24:25], v[36:37]
	v_add_f64 v[66:67], v[66:67], v[34:35]
	v_add_f64 v[44:45], v[44:45], v[56:57]
	v_mul_f64 v[56:57], v[38:39], s[30:31]
	v_add_f64 v[66:67], v[66:67], v[28:29]
	v_add_f64 v[50:51], v[50:51], v[58:59]
	v_fma_f64 v[58:59], s[36:37], v[36:37], v[56:57]
	v_fmac_f64_e32 v[56:57], s[34:35], v[36:37]
	v_mul_f64 v[62:63], v[38:39], s[12:13]
	v_add_f64 v[66:67], v[66:67], v[30:31]
	v_add_f64 v[58:59], v[58:59], v[70:71]
	;; [unrolled: 1-line block ×3, first 2 shown]
	v_fma_f64 v[68:69], s[18:19], v[36:37], v[62:63]
	v_fmac_f64_e32 v[62:63], s[14:15], v[36:37]
	v_mul_f64 v[70:71], v[38:39], s[0:1]
	v_mul_f64 v[38:39], v[38:39], s[26:27]
	v_add_f64 v[30:31], v[32:33], v[30:31]
	v_add_f64 v[68:69], v[68:69], v[74:75]
	;; [unrolled: 1-line block ×3, first 2 shown]
	v_fma_f64 v[72:73], s[10:11], v[36:37], v[70:71]
	v_fmac_f64_e32 v[70:71], s[16:17], v[36:37]
	v_fma_f64 v[74:75], s[38:39], v[36:37], v[38:39]
	v_fmac_f64_e32 v[38:39], s[28:29], v[36:37]
	v_add_f64 v[32:33], v[42:43], -v[54:55]
	v_mul_f64 v[36:37], v[30:31], s[26:27]
	v_add_f64 v[2:3], v[38:39], v[2:3]
	v_fma_f64 v[38:39], s[38:39], v[32:33], v[36:37]
	v_fmac_f64_e32 v[36:37], s[28:29], v[32:33]
	v_mul_f64 v[42:43], v[30:31], s[20:21]
	v_add_f64 v[38:39], v[38:39], v[50:51]
	v_add_f64 v[36:37], v[36:37], v[44:45]
	v_fma_f64 v[44:45], s[24:25], v[32:33], v[42:43]
	v_fmac_f64_e32 v[42:43], s[22:23], v[32:33]
	v_mul_f64 v[50:51], v[30:31], s[0:1]
	v_add_f64 v[42:43], v[42:43], v[56:57]
	v_fma_f64 v[54:55], s[10:11], v[32:33], v[50:51]
	v_fmac_f64_e32 v[50:51], s[16:17], v[32:33]
	v_mul_f64 v[56:57], v[30:31], s[30:31]
	v_mul_f64 v[30:31], v[30:31], s[12:13]
	v_add_f64 v[50:51], v[50:51], v[62:63]
	v_fma_f64 v[62:63], s[18:19], v[32:33], v[30:31]
	v_fmac_f64_e32 v[30:31], s[14:15], v[32:33]
	v_add_f64 v[28:29], v[34:35], v[28:29]
	v_add_f64 v[44:45], v[44:45], v[58:59]
	v_fma_f64 v[58:59], s[34:35], v[32:33], v[56:57]
	v_fmac_f64_e32 v[56:57], s[36:37], v[32:33]
	v_add_f64 v[2:3], v[30:31], v[2:3]
	v_add_f64 v[30:31], v[46:47], -v[52:53]
	v_mul_f64 v[32:33], v[28:29], s[30:31]
	v_fma_f64 v[34:35], s[34:35], v[30:31], v[32:33]
	v_fmac_f64_e32 v[32:33], s[36:37], v[30:31]
	v_add_f64 v[32:33], v[32:33], v[36:37]
	v_mul_f64 v[36:37], v[28:29], s[0:1]
	v_add_f64 v[34:35], v[34:35], v[38:39]
	v_fma_f64 v[38:39], s[16:17], v[30:31], v[36:37]
	v_fmac_f64_e32 v[36:37], s[10:11], v[30:31]
	v_add_f64 v[36:37], v[36:37], v[42:43]
	v_mul_f64 v[42:43], v[28:29], s[26:27]
	v_mul_f64 v[46:47], v[28:29], s[12:13]
	v_mul_f64 v[28:29], v[28:29], s[20:21]
	v_fma_f64 v[52:53], s[22:23], v[30:31], v[28:29]
	v_fmac_f64_e32 v[28:29], s[24:25], v[30:31]
	v_add_f64 v[2:3], v[28:29], v[2:3]
	v_mul_u32_u24_e32 v28, 22, v88
	v_add_f64 v[66:67], v[66:67], v[84:85]
	v_add_f64 v[78:79], v[78:79], v[82:83]
	;; [unrolled: 1-line block ×3, first 2 shown]
	v_or_b32_e32 v28, v28, v121
	v_add_f64 v[66:67], v[66:67], v[100:101]
	v_add_f64 v[72:73], v[72:73], v[78:79]
	;; [unrolled: 1-line block ×5, first 2 shown]
	v_fma_f64 v[44:45], s[38:39], v[30:31], v[42:43]
	v_fmac_f64_e32 v[42:43], s[28:29], v[30:31]
	v_lshlrev_b32_e32 v28, 3, v28
	v_add_f64 v[66:67], v[66:67], v[106:107]
	v_add_f64 v[54:55], v[54:55], v[68:69]
	;; [unrolled: 1-line block ×6, first 2 shown]
	v_fma_f64 v[50:51], s[18:19], v[30:31], v[46:47]
	v_fmac_f64_e32 v[46:47], s[14:15], v[30:31]
	v_add3_u32 v28, 0, v28, v120
	v_add_f64 v[44:45], v[44:45], v[54:55]
	v_add_f64 v[50:51], v[50:51], v[58:59]
	;; [unrolled: 1-line block ×4, first 2 shown]
	ds_write2_b64 v28, v[66:67], v[34:35] offset1:2
	ds_write2_b64 v28, v[38:39], v[44:45] offset0:4 offset1:6
	ds_write2_b64 v28, v[50:51], v[52:53] offset0:8 offset1:10
	;; [unrolled: 1-line block ×4, first 2 shown]
	ds_write_b64 v28, v[32:33] offset:160
.LBB0_20:
	s_or_b64 exec, exec, s[4:5]
	v_lshrrev_b16_e32 v2, 1, v116
	v_and_b32_e32 v2, 0x7f, v2
	v_mul_lo_u16_e32 v2, 0xbb, v2
	v_lshrrev_b16_e32 v65, 11, v2
	v_mul_lo_u16_e32 v2, 22, v65
	v_sub_u16_e32 v121, v116, v2
	v_mov_b32_e32 v2, 6
	v_mul_u32_u24_sdwa v3, v121, v2 dst_sel:DWORD dst_unused:UNUSED_PAD src0_sel:BYTE_0 src1_sel:DWORD
	v_lshlrev_b32_e32 v3, 4, v3
	s_waitcnt lgkmcnt(0)
	s_barrier
	global_load_dwordx4 v[28:31], v3, s[8:9] offset:336
	global_load_dwordx4 v[32:35], v3, s[8:9] offset:320
	;; [unrolled: 1-line block ×6, first 2 shown]
	v_lshrrev_b16_e32 v3, 1, v119
	v_and_b32_e32 v3, 0x7f, v3
	v_mul_lo_u16_e32 v3, 0xbb, v3
	v_lshrrev_b16_e32 v144, 11, v3
	v_mul_lo_u16_e32 v3, 22, v144
	v_sub_u16_e32 v145, v119, v3
	v_mul_u32_u24_sdwa v2, v145, v2 dst_sel:DWORD dst_unused:UNUSED_PAD src0_sel:BYTE_0 src1_sel:DWORD
	v_lshlrev_b32_e32 v2, 4, v2
	global_load_dwordx4 v[66:69], v2, s[8:9] offset:320
	global_load_dwordx4 v[70:73], v2, s[8:9] offset:336
	;; [unrolled: 1-line block ×6, first 2 shown]
	ds_read2_b64 v[90:93], v118 offset0:77 offset1:154
	ds_read2_b64 v[100:103], v48 offset0:103 offset1:180
	;; [unrolled: 1-line block ×6, first 2 shown]
	ds_read_b64 v[2:3], v117
	ds_read_b64 v[46:47], v118 offset:8008
	s_mov_b32 s12, 0x37e14327
	s_mov_b32 s14, 0x36b3c0b5
	;; [unrolled: 1-line block ×20, first 2 shown]
	s_movk_i32 s26, 0x4d0
	s_waitcnt lgkmcnt(0)
	s_barrier
	s_waitcnt vmcnt(11)
	v_mul_f64 v[62:63], v[102:103], v[30:31]
	s_waitcnt vmcnt(10)
	v_mul_f64 v[58:59], v[92:93], v[34:35]
	v_mul_f64 v[34:35], v[6:7], v[34:35]
	;; [unrolled: 1-line block ×3, first 2 shown]
	s_waitcnt vmcnt(7)
	v_mul_f64 v[130:131], v[124:125], v[52:53]
	s_waitcnt vmcnt(6)
	v_mul_f64 v[128:129], v[114:115], v[56:57]
	v_mul_f64 v[56:57], v[22:23], v[56:57]
	;; [unrolled: 1-line block ×7, first 2 shown]
	v_fmac_f64_e32 v[58:59], v[6:7], v[32:33]
	v_fma_f64 v[6:7], v[92:93], v[32:33], -v[34:35]
	s_waitcnt vmcnt(0)
	v_mul_f64 v[32:33], v[40:41], v[88:89]
	v_fmac_f64_e32 v[62:63], v[10:11], v[28:29]
	v_fma_f64 v[10:11], v[102:103], v[28:29], -v[30:31]
	v_fmac_f64_e32 v[128:129], v[22:23], v[54:55]
	v_fma_f64 v[22:23], v[114:115], v[54:55], -v[56:57]
	;; [unrolled: 2-line block ×3, first 2 shown]
	v_mul_f64 v[142:143], v[46:47], v[88:89]
	v_fmac_f64_e32 v[94:95], v[14:15], v[42:43]
	v_fma_f64 v[14:15], v[106:107], v[42:43], -v[44:45]
	v_fmac_f64_e32 v[126:127], v[18:19], v[36:37]
	v_fma_f64 v[18:19], v[110:111], v[36:37], -v[38:39]
	v_fma_f64 v[28:29], v[46:47], v[86:87], -v[32:33]
	v_add_f64 v[30:31], v[58:59], v[130:131]
	v_add_f64 v[32:33], v[6:7], v[26:27]
	v_add_f64 v[6:7], v[6:7], -v[26:27]
	v_add_f64 v[26:27], v[62:63], v[128:129]
	v_add_f64 v[36:37], v[10:11], v[22:23]
	v_fmac_f64_e32 v[142:143], v[40:41], v[86:87]
	v_add_f64 v[34:35], v[58:59], -v[130:131]
	v_add_f64 v[38:39], v[62:63], -v[128:129]
	;; [unrolled: 1-line block ×3, first 2 shown]
	v_add_f64 v[22:23], v[94:95], v[126:127]
	v_add_f64 v[40:41], v[14:15], v[18:19]
	v_add_f64 v[42:43], v[126:127], -v[94:95]
	v_add_f64 v[14:15], v[18:19], -v[14:15]
	v_add_f64 v[18:19], v[26:27], v[30:31]
	v_add_f64 v[44:45], v[36:37], v[32:33]
	v_add_f64 v[46:47], v[26:27], -v[30:31]
	v_add_f64 v[50:51], v[36:37], -v[32:33]
	;; [unrolled: 1-line block ×6, first 2 shown]
	v_add_f64 v[52:53], v[42:43], v[38:39]
	v_add_f64 v[54:55], v[14:15], v[10:11]
	v_add_f64 v[56:57], v[42:43], -v[38:39]
	v_add_f64 v[58:59], v[14:15], -v[10:11]
	;; [unrolled: 1-line block ×4, first 2 shown]
	v_add_f64 v[18:19], v[22:23], v[18:19]
	v_add_f64 v[22:23], v[40:41], v[44:45]
	v_add_f64 v[42:43], v[34:35], -v[42:43]
	v_add_f64 v[14:15], v[6:7], -v[14:15]
	v_add_f64 v[34:35], v[52:53], v[34:35]
	v_add_f64 v[6:7], v[54:55], v[6:7]
	;; [unrolled: 1-line block ×4, first 2 shown]
	v_mul_f64 v[2:3], v[30:31], s[12:13]
	v_mul_f64 v[30:31], v[32:33], s[12:13]
	;; [unrolled: 1-line block ×12, first 2 shown]
	v_fma_f64 v[18:19], s[20:21], v[18:19], v[0:1]
	v_fma_f64 v[22:23], s[20:21], v[22:23], v[40:41]
	v_fma_f64 v[32:33], v[46:47], s[4:5], -v[32:33]
	v_fma_f64 v[44:45], v[50:51], s[4:5], -v[44:45]
	v_fma_f64 v[46:47], v[46:47], s[16:17], -v[2:3]
	v_fmac_f64_e32 v[2:3], s[14:15], v[26:27]
	v_fma_f64 v[26:27], v[50:51], s[16:17], -v[30:31]
	v_fmac_f64_e32 v[30:31], s[14:15], v[36:37]
	v_fma_f64 v[36:37], v[38:39], s[0:1], -v[52:53]
	v_fma_f64 v[10:11], v[10:11], s[0:1], -v[54:55]
	v_fmac_f64_e32 v[54:55], s[24:25], v[14:15]
	v_fma_f64 v[38:39], v[42:43], s[22:23], -v[56:57]
	v_fma_f64 v[14:15], v[14:15], s[22:23], -v[58:59]
	v_mul_f64 v[72:73], v[12:13], v[72:73]
	v_mul_f64 v[136:137], v[108:109], v[76:77]
	;; [unrolled: 1-line block ×6, first 2 shown]
	v_fmac_f64_e32 v[132:133], v[8:9], v[66:67]
	v_fma_f64 v[8:9], v[100:101], v[66:67], -v[68:69]
	v_fmac_f64_e32 v[134:135], v[12:13], v[70:71]
	v_fmac_f64_e32 v[140:141], v[24:25], v[82:83]
	;; [unrolled: 1-line block ×3, first 2 shown]
	v_add_f64 v[2:3], v[2:3], v[18:19]
	v_add_f64 v[30:31], v[30:31], v[22:23]
	;; [unrolled: 1-line block ×6, first 2 shown]
	v_fmac_f64_e32 v[36:37], s[18:19], v[34:35]
	v_fmac_f64_e32 v[10:11], s[18:19], v[6:7]
	;; [unrolled: 1-line block ×4, first 2 shown]
	v_fma_f64 v[12:13], v[104:105], v[70:71], -v[72:73]
	v_fmac_f64_e32 v[136:137], v[16:17], v[74:75]
	v_fma_f64 v[16:17], v[108:109], v[74:75], -v[76:77]
	v_fmac_f64_e32 v[138:139], v[20:21], v[78:79]
	v_fma_f64 v[20:21], v[112:113], v[78:79], -v[80:81]
	v_fma_f64 v[24:25], v[122:123], v[82:83], -v[84:85]
	v_fmac_f64_e32 v[52:53], s[18:19], v[34:35]
	v_fmac_f64_e32 v[54:55], s[18:19], v[6:7]
	v_add_f64 v[34:35], v[14:15], v[18:19]
	v_add_f64 v[44:45], v[22:23], -v[38:39]
	v_add_f64 v[46:47], v[32:33], -v[10:11]
	v_add_f64 v[50:51], v[36:37], v[42:43]
	v_add_f64 v[10:11], v[10:11], v[32:33]
	v_add_f64 v[32:33], v[42:43], -v[36:37]
	v_add_f64 v[14:15], v[18:19], -v[14:15]
	v_add_f64 v[36:37], v[38:39], v[22:23]
	v_add_f64 v[18:19], v[132:133], v[142:143]
	;; [unrolled: 1-line block ×3, first 2 shown]
	v_add_f64 v[8:9], v[8:9], -v[28:29]
	v_add_f64 v[28:29], v[134:135], v[140:141]
	v_add_f64 v[6:7], v[54:55], v[2:3]
	v_add_f64 v[26:27], v[30:31], -v[52:53]
	v_add_f64 v[2:3], v[2:3], -v[54:55]
	v_add_f64 v[30:31], v[52:53], v[30:31]
	v_add_f64 v[42:43], v[12:13], v[24:25]
	v_add_f64 v[52:53], v[134:135], -v[140:141]
	v_add_f64 v[12:13], v[12:13], -v[24:25]
	v_add_f64 v[24:25], v[136:137], v[138:139]
	v_add_f64 v[54:55], v[16:17], v[20:21]
	v_add_f64 v[56:57], v[138:139], -v[136:137]
	v_add_f64 v[16:17], v[20:21], -v[16:17]
	v_add_f64 v[20:21], v[28:29], v[18:19]
	v_add_f64 v[38:39], v[132:133], -v[142:143]
	v_add_f64 v[58:59], v[42:43], v[22:23]
	v_add_f64 v[62:63], v[28:29], -v[18:19]
	v_add_f64 v[18:19], v[18:19], -v[24:25]
	v_add_f64 v[28:29], v[24:25], -v[28:29]
	v_add_f64 v[70:71], v[16:17], v[12:13]
	v_add_f64 v[72:73], v[56:57], -v[52:53]
	v_add_f64 v[74:75], v[16:17], -v[12:13]
	;; [unrolled: 4-line block ×4, first 2 shown]
	v_add_f64 v[24:25], v[54:55], v[58:59]
	v_add_f64 v[8:9], v[70:71], v[8:9]
	v_add_f64 v[4:5], v[4:5], v[20:21]
	v_mul_f64 v[18:19], v[18:19], s[12:13]
	v_mul_f64 v[58:59], v[28:29], s[14:15]
	;; [unrolled: 1-line block ×5, first 2 shown]
	v_add_f64 v[56:57], v[38:39], -v[56:57]
	v_add_f64 v[38:39], v[68:69], v[38:39]
	v_add_f64 v[54:55], v[90:91], v[24:25]
	v_mul_f64 v[22:23], v[22:23], s[12:13]
	v_mul_f64 v[68:69], v[42:43], s[14:15]
	;; [unrolled: 1-line block ×3, first 2 shown]
	v_fma_f64 v[20:21], s[20:21], v[20:21], v[4:5]
	v_fma_f64 v[58:59], v[62:63], s[4:5], -v[58:59]
	v_fma_f64 v[62:63], v[62:63], s[16:17], -v[18:19]
	v_fmac_f64_e32 v[18:19], s[14:15], v[28:29]
	v_fma_f64 v[12:13], v[12:13], s[0:1], -v[72:73]
	v_fmac_f64_e32 v[72:73], s[24:25], v[16:17]
	v_fma_f64 v[16:17], v[16:17], s[22:23], -v[76:77]
	v_fma_f64 v[24:25], s[20:21], v[24:25], v[54:55]
	v_fma_f64 v[68:69], v[66:67], s[4:5], -v[68:69]
	v_fma_f64 v[28:29], v[66:67], s[16:17], -v[22:23]
	v_fmac_f64_e32 v[22:23], s[14:15], v[42:43]
	v_fma_f64 v[42:43], v[52:53], s[0:1], -v[70:71]
	v_fmac_f64_e32 v[70:71], s[24:25], v[56:57]
	v_fma_f64 v[52:53], v[56:57], s[22:23], -v[74:75]
	v_add_f64 v[18:19], v[18:19], v[20:21]
	v_add_f64 v[56:57], v[58:59], v[20:21]
	;; [unrolled: 1-line block ×3, first 2 shown]
	v_fmac_f64_e32 v[16:17], s[18:19], v[8:9]
	v_add_f64 v[22:23], v[22:23], v[24:25]
	v_add_f64 v[58:59], v[68:69], v[24:25]
	v_fmac_f64_e32 v[70:71], s[18:19], v[38:39]
	v_fmac_f64_e32 v[42:43], s[18:19], v[38:39]
	;; [unrolled: 1-line block ×3, first 2 shown]
	v_add_f64 v[38:39], v[16:17], v[20:21]
	v_add_f64 v[16:17], v[20:21], -v[16:17]
	v_mov_b32_e32 v21, 3
	v_add_f64 v[24:25], v[28:29], v[24:25]
	v_add_f64 v[28:29], v[22:23], -v[70:71]
	v_add_f64 v[68:69], v[42:43], v[58:59]
	v_add_f64 v[42:43], v[58:59], -v[42:43]
	v_add_f64 v[58:59], v[70:71], v[22:23]
	v_mad_u32_u24 v20, v65, s26, 0
	v_lshlrev_b32_sdwa v22, v21, v121 dst_sel:DWORD dst_unused:UNUSED_PAD src0_sel:DWORD src1_sel:BYTE_0
	v_add3_u32 v65, v20, v22, v120
	v_fmac_f64_e32 v[72:73], s[18:19], v[8:9]
	v_fmac_f64_e32 v[12:13], s[18:19], v[8:9]
	ds_write2_b64 v65, v[0:1], v[6:7] offset1:22
	ds_write2_b64 v65, v[34:35], v[46:47] offset0:44 offset1:66
	ds_write2_b64 v65, v[10:11], v[14:15] offset0:88 offset1:110
	ds_write_b64 v65, v[2:3] offset:1056
	v_mad_u32_u24 v0, v144, s26, 0
	v_lshlrev_b32_sdwa v1, v21, v145 dst_sel:DWORD dst_unused:UNUSED_PAD src0_sel:DWORD src1_sel:BYTE_0
	v_add_f64 v[8:9], v[72:73], v[18:19]
	v_add_f64 v[66:67], v[56:57], -v[12:13]
	v_add_f64 v[12:13], v[12:13], v[56:57]
	v_add_f64 v[18:19], v[18:19], -v[72:73]
	v_add3_u32 v34, v0, v1, v120
	v_add_f64 v[62:63], v[24:25], -v[52:53]
	v_add_f64 v[24:25], v[52:53], v[24:25]
	ds_write2_b64 v34, v[4:5], v[8:9] offset1:22
	ds_write2_b64 v34, v[38:39], v[66:67] offset0:44 offset1:66
	ds_write2_b64 v34, v[12:13], v[16:17] offset0:88 offset1:110
	ds_write_b64 v34, v[18:19] offset:1056
	s_waitcnt lgkmcnt(0)
	s_barrier
	ds_read2_b64 v[0:3], v118 offset0:77 offset1:154
	ds_read2_b64 v[8:11], v48 offset0:103 offset1:180
	;; [unrolled: 1-line block ×6, first 2 shown]
	ds_read_b64 v[52:53], v117
	ds_read_b64 v[56:57], v118 offset:8008
	s_waitcnt lgkmcnt(0)
	s_barrier
	ds_write2_b64 v65, v[40:41], v[26:27] offset1:22
	ds_write2_b64 v65, v[44:45], v[50:51] offset0:44 offset1:66
	ds_write2_b64 v65, v[32:33], v[36:37] offset0:88 offset1:110
	ds_write_b64 v65, v[30:31] offset:1056
	ds_write2_b64 v34, v[54:55], v[28:29] offset1:22
	ds_write2_b64 v34, v[62:63], v[68:69] offset0:44 offset1:66
	ds_write2_b64 v34, v[42:43], v[24:25] offset0:88 offset1:110
	ds_write_b64 v34, v[58:59] offset:1056
	s_waitcnt lgkmcnt(0)
	s_barrier
	s_and_saveexec_b64 s[26:27], vcc
	s_cbranch_execz .LBB0_22
; %bb.21:
	v_mul_u32_u24_e32 v24, 6, v119
	v_lshlrev_b32_e32 v28, 4, v24
	global_load_dwordx4 v[24:27], v28, s[8:9] offset:2480
	global_load_dwordx4 v[32:35], v28, s[8:9] offset:2464
	;; [unrolled: 1-line block ×6, first 2 shown]
	v_mul_u32_u24_e32 v78, 6, v116
	v_mul_lo_u32 v58, s3, v98
	v_mul_lo_u32 v59, s2, v99
	v_mad_u64_u32 v[54:55], s[2:3], s2, v98, 0
	v_add_u32_e32 v60, 0x1400, v118
	v_add_u32_e32 v62, 0x1000, v118
	;; [unrolled: 1-line block ×5, first 2 shown]
	v_lshlrev_b32_e32 v108, 4, v78
	ds_read2_b64 v[28:31], v118 offset0:77 offset1:154
	ds_read_b64 v[94:95], v118 offset:8008
	ds_read_b64 v[106:107], v117
	v_add3_u32 v55, v55, v59, v58
	ds_read2_b64 v[58:61], v60 offset0:53 offset1:130
	ds_read2_b64 v[62:65], v62 offset0:27 offset1:104
	;; [unrolled: 1-line block ×5, first 2 shown]
	global_load_dwordx4 v[78:81], v108, s[8:9] offset:2480
	global_load_dwordx4 v[82:85], v108, s[8:9] offset:2464
	;; [unrolled: 1-line block ×6, first 2 shown]
	s_movk_i32 s2, 0x1000
	s_waitcnt vmcnt(11)
	v_mul_f64 v[108:109], v[12:13], v[24:25]
	v_mul_f64 v[12:13], v[12:13], v[26:27]
	s_waitcnt vmcnt(9)
	v_mul_f64 v[112:113], v[20:21], v[36:37]
	s_waitcnt vmcnt(8)
	;; [unrolled: 2-line block ×4, first 2 shown]
	v_mul_f64 v[120:121], v[56:57], v[44:45]
	v_mul_f64 v[20:21], v[20:21], v[38:39]
	;; [unrolled: 1-line block ×7, first 2 shown]
	s_waitcnt lgkmcnt(4)
	v_fma_f64 v[12:13], v[58:59], v[24:25], -v[12:13]
	s_waitcnt lgkmcnt(2)
	v_fma_f64 v[20:21], v[66:67], v[36:37], -v[20:21]
	;; [unrolled: 2-line block ×4, first 2 shown]
	v_fma_f64 v[24:25], v[94:95], v[44:45], -v[56:57]
	v_fmac_f64_e32 v[108:109], v[58:59], v[26:27]
	v_fmac_f64_e32 v[110:111], v[62:63], v[34:35]
	;; [unrolled: 1-line block ×6, first 2 shown]
	v_fma_f64 v[16:17], v[62:63], v[32:33], -v[16:17]
	v_add_f64 v[40:41], v[20:21], v[4:5]
	v_add_f64 v[42:43], v[8:9], v[24:25]
	v_add_f64 v[26:27], v[108:109], -v[110:111]
	v_add_f64 v[32:33], v[112:113], -v[114:115]
	;; [unrolled: 1-line block ×3, first 2 shown]
	v_add_f64 v[36:37], v[12:13], v[16:17]
	v_add_f64 v[44:45], v[108:109], v[110:111]
	;; [unrolled: 1-line block ×6, first 2 shown]
	v_add_f64 v[50:51], v[26:27], -v[32:33]
	v_add_f64 v[56:57], v[34:35], -v[26:27]
	;; [unrolled: 1-line block ×5, first 2 shown]
	v_add_f64 v[36:37], v[36:37], v[62:63]
	v_add_f64 v[66:67], v[44:45], -v[46:47]
	v_add_f64 v[74:75], v[38:39], v[34:35]
	v_mul_f64 v[70:71], v[70:71], s[12:13]
	v_add_f64 v[38:39], v[28:29], v[36:37]
	v_mul_f64 v[62:63], v[66:67], s[14:15]
	v_fma_f64 v[28:29], s[14:15], v[66:67], v[70:71]
	v_mov_b64_e32 v[66:67], v[38:39]
	v_fmac_f64_e32 v[66:67], s[20:21], v[36:37]
	v_add_f64 v[36:37], v[46:47], v[48:49]
	v_add_f64 v[44:45], v[44:45], v[36:37]
	;; [unrolled: 1-line block ×3, first 2 shown]
	v_mov_b64_e32 v[0:1], v[36:37]
	v_add_f64 v[12:13], v[12:13], -v[16:17]
	v_add_f64 v[4:5], v[20:21], -v[4:5]
	;; [unrolled: 1-line block ×3, first 2 shown]
	v_fmac_f64_e32 v[0:1], s[20:21], v[44:45]
	v_add_f64 v[16:17], v[12:13], v[4:5]
	v_add_f64 v[20:21], v[12:13], -v[4:5]
	v_add_f64 v[44:45], v[32:33], -v[34:35]
	;; [unrolled: 1-line block ×3, first 2 shown]
	v_mul_f64 v[50:51], v[50:51], s[10:11]
	v_mul_f64 v[94:95], v[26:27], s[14:15]
	;; [unrolled: 1-line block ×3, first 2 shown]
	v_add_f64 v[16:17], v[16:17], v[8:9]
	v_mul_f64 v[20:21], v[20:21], s[10:11]
	v_add_f64 v[12:13], v[8:9], -v[12:13]
	v_mul_f64 v[32:33], v[44:45], s[0:1]
	v_add_f64 v[40:41], v[40:41], -v[42:43]
	v_mul_f64 v[8:9], v[4:5], s[0:1]
	v_fma_f64 v[108:109], s[24:25], v[56:57], v[50:51]
	v_fma_f64 v[112:113], s[24:25], v[12:13], v[20:21]
	v_fma_f64 v[56:57], v[56:57], s[22:23], -v[32:33]
	v_fma_f64 v[32:33], v[40:41], s[16:17], -v[58:59]
	v_add_f64 v[46:47], v[46:47], -v[48:49]
	v_fma_f64 v[8:9], v[12:13], s[22:23], -v[8:9]
	v_fma_f64 v[12:13], v[40:41], s[4:5], -v[94:95]
	;; [unrolled: 1-line block ×4, first 2 shown]
	v_fma_f64 v[26:27], s[14:15], v[26:27], v[58:59]
	v_fmac_f64_e32 v[112:113], s[18:19], v[16:17]
	v_add_f64 v[58:59], v[32:33], v[66:67]
	v_fma_f64 v[32:33], v[46:47], s[16:17], -v[70:71]
	v_fmac_f64_e32 v[8:9], s[18:19], v[16:17]
	v_add_f64 v[12:13], v[12:13], v[66:67]
	v_fmac_f64_e32 v[44:45], s[18:19], v[74:75]
	v_fmac_f64_e32 v[4:5], s[18:19], v[16:17]
	v_fma_f64 v[16:17], v[46:47], s[4:5], -v[62:63]
	v_add_f64 v[110:111], v[26:27], v[66:67]
	v_add_f64 v[28:29], v[28:29], v[0:1]
	v_add_f64 v[48:49], v[32:33], v[0:1]
	v_add_f64 v[42:43], v[12:13], -v[44:45]
	v_add_f64 v[0:1], v[16:17], v[0:1]
	v_add_f64 v[46:47], v[44:45], v[12:13]
	s_waitcnt vmcnt(3)
	v_mul_f64 v[12:13], v[10:11], v[86:87]
	s_waitcnt vmcnt(0)
	v_mul_f64 v[16:17], v[14:15], v[102:103]
	v_mul_f64 v[62:63], v[2:3], v[90:91]
	;; [unrolled: 1-line block ×3, first 2 shown]
	v_add_f64 v[40:41], v[4:5], v[0:1]
	v_add_f64 v[44:45], v[0:1], -v[4:5]
	v_mul_f64 v[0:1], v[18:19], v[78:79]
	v_mul_f64 v[4:5], v[22:23], v[82:83]
	v_fmac_f64_e32 v[12:13], v[76:77], v[88:89]
	v_fmac_f64_e32 v[16:17], v[60:61], v[104:105]
	;; [unrolled: 1-line block ×6, first 2 shown]
	v_add_f64 v[20:21], v[12:13], -v[16:17]
	v_add_f64 v[70:71], v[62:63], -v[66:67]
	v_mul_f64 v[22:23], v[22:23], v[84:85]
	v_add_f64 v[12:13], v[12:13], v[16:17]
	v_add_f64 v[62:63], v[62:63], v[66:67]
	v_add_f64 v[32:33], v[48:49], -v[8:9]
	v_add_f64 v[48:49], v[8:9], v[48:49]
	v_add_f64 v[8:9], v[0:1], -v[4:5]
	v_fma_f64 v[22:23], v[68:69], v[82:83], -v[22:23]
	v_mul_f64 v[2:3], v[2:3], v[92:93]
	v_add_f64 v[0:1], v[0:1], v[4:5]
	v_add_f64 v[82:83], v[12:13], v[62:63]
	v_mul_f64 v[18:19], v[18:19], v[80:81]
	v_fma_f64 v[30:31], v[30:31], v[90:91], -v[2:3]
	v_mul_f64 v[2:3], v[6:7], v[100:101]
	v_add_f64 v[82:83], v[0:1], v[82:83]
	v_fma_f64 v[18:19], v[64:65], v[78:79], -v[18:19]
	v_mul_f64 v[10:11], v[10:11], v[88:89]
	v_mul_f64 v[14:15], v[14:15], v[104:105]
	v_fma_f64 v[72:73], v[72:73], v[98:99], -v[2:3]
	v_add_f64 v[4:5], v[0:1], -v[12:13]
	v_add_f64 v[66:67], v[62:63], -v[0:1]
	v_add_f64 v[0:1], v[52:53], v[82:83]
	v_add_f64 v[64:65], v[18:19], v[22:23]
	v_fma_f64 v[10:11], v[76:77], v[86:87], -v[10:11]
	v_fma_f64 v[14:15], v[60:61], v[102:103], -v[14:15]
	v_add_f64 v[78:79], v[30:31], v[72:73]
	v_mul_f64 v[66:67], v[66:67], s[12:13]
	v_mov_b64_e32 v[52:53], v[0:1]
	v_add_f64 v[60:61], v[10:11], v[14:15]
	v_add_f64 v[2:3], v[78:79], -v[64:65]
	v_mul_f64 v[16:17], v[4:5], s[14:15]
	v_fma_f64 v[4:5], s[14:15], v[4:5], v[66:67]
	v_fmac_f64_e32 v[52:53], s[20:21], v[82:83]
	v_mul_f64 v[80:81], v[2:3], s[12:13]
	v_add_f64 v[2:3], v[60:61], v[78:79]
	v_add_f64 v[82:83], v[4:5], v[52:53]
	v_add_f64 v[4:5], v[18:19], -v[22:23]
	v_add_f64 v[14:15], v[10:11], -v[14:15]
	v_fmac_f64_e32 v[56:57], s[18:19], v[74:75]
	v_add_f64 v[68:69], v[64:65], -v[60:61]
	v_add_f64 v[64:65], v[64:65], v[2:3]
	v_add_f64 v[10:11], v[4:5], v[14:15]
	v_add_f64 v[18:19], v[30:31], -v[72:73]
	v_fmac_f64_e32 v[108:109], s[18:19], v[74:75]
	v_add_f64 v[24:25], v[28:29], -v[112:113]
	v_add_f64 v[34:35], v[56:57], v[58:59]
	v_add_f64 v[50:51], v[58:59], -v[56:57]
	v_add_f64 v[56:57], v[112:113], v[28:29]
	v_add_f64 v[28:29], v[8:9], v[20:21]
	v_add_f64 v[74:75], v[8:9], -v[20:21]
	v_add_f64 v[2:3], v[106:107], v[64:65]
	v_add_f64 v[22:23], v[10:11], v[18:19]
	v_add_f64 v[10:11], v[4:5], -v[14:15]
	v_add_f64 v[20:21], v[20:21], -v[70:71]
	v_mul_f64 v[74:75], v[74:75], s[10:11]
	v_add_f64 v[8:9], v[70:71], -v[8:9]
	v_mul_f64 v[76:77], v[68:69], s[14:15]
	v_fma_f64 v[6:7], s[14:15], v[68:69], v[80:81]
	v_mov_b64_e32 v[68:69], v[2:3]
	v_mul_f64 v[30:31], v[10:11], s[10:11]
	v_mul_f64 v[10:11], v[20:21], s[0:1]
	v_add_f64 v[60:61], v[60:61], -v[78:79]
	v_add_f64 v[28:29], v[28:29], v[70:71]
	v_fma_f64 v[94:95], s[24:25], v[8:9], v[74:75]
	v_fmac_f64_e32 v[68:69], s[20:21], v[64:65]
	v_fma_f64 v[70:71], v[8:9], s[22:23], -v[10:11]
	v_fma_f64 v[8:9], v[60:61], s[16:17], -v[80:81]
	v_add_f64 v[12:13], v[12:13], -v[62:63]
	v_add_f64 v[72:73], v[18:19], -v[4:5]
	v_add_f64 v[78:79], v[8:9], v[68:69]
	v_fma_f64 v[8:9], v[12:13], s[16:17], -v[66:67]
	v_add_f64 v[18:19], v[14:15], -v[18:19]
	v_fma_f64 v[20:21], v[20:21], s[0:1], -v[74:75]
	v_fmac_f64_e32 v[94:95], s[18:19], v[28:29]
	v_fmac_f64_e32 v[70:71], s[18:19], v[28:29]
	v_add_f64 v[62:63], v[8:9], v[52:53]
	v_mul_f64 v[8:9], v[18:19], s[0:1]
	v_fmac_f64_e32 v[20:21], s[18:19], v[28:29]
	v_fma_f64 v[28:29], v[18:19], s[0:1], -v[30:31]
	v_fma_f64 v[12:13], v[12:13], s[4:5], -v[16:17]
	s_mov_b32 s0, 0x3531dec1
	v_add_f64 v[16:17], v[12:13], v[52:53]
	v_mul_hi_u32 v52, v116, s0
	v_fma_f64 v[14:15], v[60:61], s[4:5], -v[76:77]
	v_lshrrev_b32_e32 v52, 5, v52
	s_movk_i32 s1, 0x9a
	v_add_f64 v[60:61], v[14:15], v[68:69]
	v_mul_lo_u32 v52, v52, s1
	v_add_f64 v[14:15], v[60:61], -v[20:21]
	v_add_f64 v[18:19], v[20:21], v[60:61]
	v_sub_u32_e32 v60, v116, v52
	v_lshl_add_u64 v[52:53], v[54:55], 4, s[6:7]
	v_fma_f64 v[84:85], s[24:25], v[72:73], v[30:31]
	v_lshl_add_u64 v[52:53], v[96:97], 4, v[52:53]
	v_lshlrev_b32_e32 v54, 4, v60
	v_mov_b32_e32 v55, 0
	v_add_f64 v[64:65], v[6:7], v[68:69]
	v_fmac_f64_e32 v[84:85], s[18:19], v[22:23]
	v_fma_f64 v[66:67], v[72:73], s[22:23], -v[8:9]
	v_fmac_f64_e32 v[28:29], s[18:19], v[22:23]
	v_lshl_add_u64 v[60:61], v[52:53], 0, v[54:55]
	v_fmac_f64_e32 v[66:67], s[18:19], v[22:23]
	v_add_f64 v[12:13], v[28:29], v[16:17]
	v_add_f64 v[16:17], v[16:17], -v[28:29]
	v_add_f64 v[30:31], v[64:65], -v[94:95]
	v_add_f64 v[28:29], v[84:85], v[82:83]
	global_store_dwordx4 v[60:61], v[0:3], off
	global_store_dwordx4 v[60:61], v[28:31], off offset:2464
	v_add_f64 v[22:23], v[78:79], -v[70:71]
	v_add_co_u32_e32 v0, vcc, s2, v60
	v_add_f64 v[20:21], v[66:67], v[62:63]
	s_nop 0
	v_addc_co_u32_e32 v1, vcc, 0, v61, vcc
	s_movk_i32 s2, 0x2000
	global_store_dwordx4 v[0:1], v[20:23], off offset:832
	global_store_dwordx4 v[0:1], v[16:19], off offset:3296
	v_add_co_u32_e32 v0, vcc, s2, v60
	s_movk_i32 s2, 0x3000
	s_nop 0
	v_addc_co_u32_e32 v1, vcc, 0, v61, vcc
	global_store_dwordx4 v[0:1], v[12:15], off offset:1664
	v_add_co_u32_e32 v0, vcc, s2, v60
	v_add_f64 v[10:11], v[70:71], v[78:79]
	v_add_f64 v[8:9], v[62:63], -v[66:67]
	v_addc_co_u32_e32 v1, vcc, 0, v61, vcc
	v_add_f64 v[6:7], v[94:95], v[64:65]
	v_add_f64 v[4:5], v[82:83], -v[84:85]
	global_store_dwordx4 v[0:1], v[8:11], off offset:32
	global_store_dwordx4 v[0:1], v[4:7], off offset:2496
	v_add_u32_e32 v0, 0x4d, v116
	v_mul_hi_u32 v1, v0, s0
	v_lshrrev_b32_e32 v1, 5, v1
	v_mul_lo_u32 v2, v1, s1
	v_sub_u32_e32 v0, v0, v2
	s_movk_i32 s0, 0x436
	v_mad_u64_u32 v[0:1], s[0:1], v1, s0, v[0:1]
	v_mov_b32_e32 v1, v55
	v_lshl_add_u64 v[2:3], v[0:1], 4, v[52:53]
	v_add_u32_e32 v54, 0x9a, v0
	v_add_f64 v[58:59], v[110:111], -v[108:109]
	global_store_dwordx4 v[2:3], v[36:39], off
	v_lshl_add_u64 v[2:3], v[54:55], 4, v[52:53]
	v_add_u32_e32 v54, 0x134, v0
	global_store_dwordx4 v[2:3], v[56:59], off
	v_lshl_add_u64 v[2:3], v[54:55], 4, v[52:53]
	v_add_u32_e32 v54, 0x1ce, v0
	;; [unrolled: 3-line block ×5, first 2 shown]
	v_add_f64 v[26:27], v[108:109], v[110:111]
	v_lshl_add_u64 v[0:1], v[54:55], 4, v[52:53]
	global_store_dwordx4 v[2:3], v[32:35], off
	global_store_dwordx4 v[0:1], v[24:27], off
.LBB0_22:
	s_endpgm
	.section	.rodata,"a",@progbits
	.p2align	6, 0x0
	.amdhsa_kernel fft_rtc_back_len1078_factors_2_11_7_7_wgs_231_tpt_77_halfLds_dp_op_CI_CI_unitstride_sbrr_dirReg
		.amdhsa_group_segment_fixed_size 0
		.amdhsa_private_segment_fixed_size 0
		.amdhsa_kernarg_size 104
		.amdhsa_user_sgpr_count 2
		.amdhsa_user_sgpr_dispatch_ptr 0
		.amdhsa_user_sgpr_queue_ptr 0
		.amdhsa_user_sgpr_kernarg_segment_ptr 1
		.amdhsa_user_sgpr_dispatch_id 0
		.amdhsa_user_sgpr_kernarg_preload_length 0
		.amdhsa_user_sgpr_kernarg_preload_offset 0
		.amdhsa_user_sgpr_private_segment_size 0
		.amdhsa_uses_dynamic_stack 0
		.amdhsa_enable_private_segment 0
		.amdhsa_system_sgpr_workgroup_id_x 1
		.amdhsa_system_sgpr_workgroup_id_y 0
		.amdhsa_system_sgpr_workgroup_id_z 0
		.amdhsa_system_sgpr_workgroup_info 0
		.amdhsa_system_vgpr_workitem_id 0
		.amdhsa_next_free_vgpr 150
		.amdhsa_next_free_sgpr 40
		.amdhsa_accum_offset 152
		.amdhsa_reserve_vcc 1
		.amdhsa_float_round_mode_32 0
		.amdhsa_float_round_mode_16_64 0
		.amdhsa_float_denorm_mode_32 3
		.amdhsa_float_denorm_mode_16_64 3
		.amdhsa_dx10_clamp 1
		.amdhsa_ieee_mode 1
		.amdhsa_fp16_overflow 0
		.amdhsa_tg_split 0
		.amdhsa_exception_fp_ieee_invalid_op 0
		.amdhsa_exception_fp_denorm_src 0
		.amdhsa_exception_fp_ieee_div_zero 0
		.amdhsa_exception_fp_ieee_overflow 0
		.amdhsa_exception_fp_ieee_underflow 0
		.amdhsa_exception_fp_ieee_inexact 0
		.amdhsa_exception_int_div_zero 0
	.end_amdhsa_kernel
	.text
.Lfunc_end0:
	.size	fft_rtc_back_len1078_factors_2_11_7_7_wgs_231_tpt_77_halfLds_dp_op_CI_CI_unitstride_sbrr_dirReg, .Lfunc_end0-fft_rtc_back_len1078_factors_2_11_7_7_wgs_231_tpt_77_halfLds_dp_op_CI_CI_unitstride_sbrr_dirReg
                                        ; -- End function
	.section	.AMDGPU.csdata,"",@progbits
; Kernel info:
; codeLenInByte = 12864
; NumSgprs: 46
; NumVgprs: 150
; NumAgprs: 0
; TotalNumVgprs: 150
; ScratchSize: 0
; MemoryBound: 1
; FloatMode: 240
; IeeeMode: 1
; LDSByteSize: 0 bytes/workgroup (compile time only)
; SGPRBlocks: 5
; VGPRBlocks: 18
; NumSGPRsForWavesPerEU: 46
; NumVGPRsForWavesPerEU: 150
; AccumOffset: 152
; Occupancy: 3
; WaveLimiterHint : 1
; COMPUTE_PGM_RSRC2:SCRATCH_EN: 0
; COMPUTE_PGM_RSRC2:USER_SGPR: 2
; COMPUTE_PGM_RSRC2:TRAP_HANDLER: 0
; COMPUTE_PGM_RSRC2:TGID_X_EN: 1
; COMPUTE_PGM_RSRC2:TGID_Y_EN: 0
; COMPUTE_PGM_RSRC2:TGID_Z_EN: 0
; COMPUTE_PGM_RSRC2:TIDIG_COMP_CNT: 0
; COMPUTE_PGM_RSRC3_GFX90A:ACCUM_OFFSET: 37
; COMPUTE_PGM_RSRC3_GFX90A:TG_SPLIT: 0
	.text
	.p2alignl 6, 3212836864
	.fill 256, 4, 3212836864
	.type	__hip_cuid_dae80a7cf06c992e,@object ; @__hip_cuid_dae80a7cf06c992e
	.section	.bss,"aw",@nobits
	.globl	__hip_cuid_dae80a7cf06c992e
__hip_cuid_dae80a7cf06c992e:
	.byte	0                               ; 0x0
	.size	__hip_cuid_dae80a7cf06c992e, 1

	.ident	"AMD clang version 19.0.0git (https://github.com/RadeonOpenCompute/llvm-project roc-6.4.0 25133 c7fe45cf4b819c5991fe208aaa96edf142730f1d)"
	.section	".note.GNU-stack","",@progbits
	.addrsig
	.addrsig_sym __hip_cuid_dae80a7cf06c992e
	.amdgpu_metadata
---
amdhsa.kernels:
  - .agpr_count:     0
    .args:
      - .actual_access:  read_only
        .address_space:  global
        .offset:         0
        .size:           8
        .value_kind:     global_buffer
      - .offset:         8
        .size:           8
        .value_kind:     by_value
      - .actual_access:  read_only
        .address_space:  global
        .offset:         16
        .size:           8
        .value_kind:     global_buffer
      - .actual_access:  read_only
        .address_space:  global
        .offset:         24
        .size:           8
        .value_kind:     global_buffer
      - .actual_access:  read_only
        .address_space:  global
        .offset:         32
        .size:           8
        .value_kind:     global_buffer
      - .offset:         40
        .size:           8
        .value_kind:     by_value
      - .actual_access:  read_only
        .address_space:  global
        .offset:         48
        .size:           8
        .value_kind:     global_buffer
      - .actual_access:  read_only
        .address_space:  global
        .offset:         56
        .size:           8
        .value_kind:     global_buffer
      - .offset:         64
        .size:           4
        .value_kind:     by_value
      - .actual_access:  read_only
        .address_space:  global
        .offset:         72
        .size:           8
        .value_kind:     global_buffer
      - .actual_access:  read_only
        .address_space:  global
        .offset:         80
        .size:           8
        .value_kind:     global_buffer
      - .actual_access:  read_only
        .address_space:  global
        .offset:         88
        .size:           8
        .value_kind:     global_buffer
      - .actual_access:  write_only
        .address_space:  global
        .offset:         96
        .size:           8
        .value_kind:     global_buffer
    .group_segment_fixed_size: 0
    .kernarg_segment_align: 8
    .kernarg_segment_size: 104
    .language:       OpenCL C
    .language_version:
      - 2
      - 0
    .max_flat_workgroup_size: 231
    .name:           fft_rtc_back_len1078_factors_2_11_7_7_wgs_231_tpt_77_halfLds_dp_op_CI_CI_unitstride_sbrr_dirReg
    .private_segment_fixed_size: 0
    .sgpr_count:     46
    .sgpr_spill_count: 0
    .symbol:         fft_rtc_back_len1078_factors_2_11_7_7_wgs_231_tpt_77_halfLds_dp_op_CI_CI_unitstride_sbrr_dirReg.kd
    .uniform_work_group_size: 1
    .uses_dynamic_stack: false
    .vgpr_count:     150
    .vgpr_spill_count: 0
    .wavefront_size: 64
amdhsa.target:   amdgcn-amd-amdhsa--gfx950
amdhsa.version:
  - 1
  - 2
...

	.end_amdgpu_metadata
